;; amdgpu-corpus repo=ROCm/rocFFT kind=compiled arch=gfx1201 opt=O3
	.text
	.amdgcn_target "amdgcn-amd-amdhsa--gfx1201"
	.amdhsa_code_object_version 6
	.protected	fft_rtc_fwd_len840_factors_2_2_2_3_5_7_wgs_56_tpt_56_halfLds_sp_ip_CI_unitstride_sbrr_C2R_dirReg ; -- Begin function fft_rtc_fwd_len840_factors_2_2_2_3_5_7_wgs_56_tpt_56_halfLds_sp_ip_CI_unitstride_sbrr_C2R_dirReg
	.globl	fft_rtc_fwd_len840_factors_2_2_2_3_5_7_wgs_56_tpt_56_halfLds_sp_ip_CI_unitstride_sbrr_C2R_dirReg
	.p2align	8
	.type	fft_rtc_fwd_len840_factors_2_2_2_3_5_7_wgs_56_tpt_56_halfLds_sp_ip_CI_unitstride_sbrr_C2R_dirReg,@function
fft_rtc_fwd_len840_factors_2_2_2_3_5_7_wgs_56_tpt_56_halfLds_sp_ip_CI_unitstride_sbrr_C2R_dirReg: ; @fft_rtc_fwd_len840_factors_2_2_2_3_5_7_wgs_56_tpt_56_halfLds_sp_ip_CI_unitstride_sbrr_C2R_dirReg
; %bb.0:
	s_clause 0x2
	s_load_b128 s[4:7], s[0:1], 0x0
	s_load_b64 s[8:9], s[0:1], 0x50
	s_load_b64 s[10:11], s[0:1], 0x18
	v_mul_u32_u24_e32 v1, 0x493, v0
	v_mov_b32_e32 v3, 0
	s_delay_alu instid0(VALU_DEP_2) | instskip(NEXT) | instid1(VALU_DEP_1)
	v_lshrrev_b32_e32 v1, 16, v1
	v_add_nc_u32_e32 v5, ttmp9, v1
	v_mov_b32_e32 v1, 0
	v_mov_b32_e32 v2, 0
	;; [unrolled: 1-line block ×3, first 2 shown]
	s_wait_kmcnt 0x0
	v_cmp_lt_u64_e64 s2, s[6:7], 2
	s_delay_alu instid0(VALU_DEP_1)
	s_and_b32 vcc_lo, exec_lo, s2
	s_cbranch_vccnz .LBB0_8
; %bb.1:
	s_load_b64 s[2:3], s[0:1], 0x10
	v_mov_b32_e32 v1, 0
	v_mov_b32_e32 v2, 0
	s_add_nc_u64 s[12:13], s[10:11], 8
	s_mov_b64 s[14:15], 1
	s_wait_kmcnt 0x0
	s_add_nc_u64 s[16:17], s[2:3], 8
	s_mov_b32 s3, 0
.LBB0_2:                                ; =>This Inner Loop Header: Depth=1
	s_load_b64 s[18:19], s[16:17], 0x0
                                        ; implicit-def: $vgpr7_vgpr8
	s_mov_b32 s2, exec_lo
	s_wait_kmcnt 0x0
	v_or_b32_e32 v4, s19, v6
	s_delay_alu instid0(VALU_DEP_1)
	v_cmpx_ne_u64_e32 0, v[3:4]
	s_wait_alu 0xfffe
	s_xor_b32 s20, exec_lo, s2
	s_cbranch_execz .LBB0_4
; %bb.3:                                ;   in Loop: Header=BB0_2 Depth=1
	s_cvt_f32_u32 s2, s18
	s_cvt_f32_u32 s21, s19
	s_sub_nc_u64 s[24:25], 0, s[18:19]
	s_wait_alu 0xfffe
	s_delay_alu instid0(SALU_CYCLE_1) | instskip(SKIP_1) | instid1(SALU_CYCLE_2)
	s_fmamk_f32 s2, s21, 0x4f800000, s2
	s_wait_alu 0xfffe
	v_s_rcp_f32 s2, s2
	s_delay_alu instid0(TRANS32_DEP_1) | instskip(SKIP_1) | instid1(SALU_CYCLE_2)
	s_mul_f32 s2, s2, 0x5f7ffffc
	s_wait_alu 0xfffe
	s_mul_f32 s21, s2, 0x2f800000
	s_wait_alu 0xfffe
	s_delay_alu instid0(SALU_CYCLE_2) | instskip(SKIP_1) | instid1(SALU_CYCLE_2)
	s_trunc_f32 s21, s21
	s_wait_alu 0xfffe
	s_fmamk_f32 s2, s21, 0xcf800000, s2
	s_cvt_u32_f32 s23, s21
	s_wait_alu 0xfffe
	s_delay_alu instid0(SALU_CYCLE_1) | instskip(SKIP_1) | instid1(SALU_CYCLE_2)
	s_cvt_u32_f32 s22, s2
	s_wait_alu 0xfffe
	s_mul_u64 s[26:27], s[24:25], s[22:23]
	s_wait_alu 0xfffe
	s_mul_hi_u32 s29, s22, s27
	s_mul_i32 s28, s22, s27
	s_mul_hi_u32 s2, s22, s26
	s_mul_i32 s30, s23, s26
	s_wait_alu 0xfffe
	s_add_nc_u64 s[28:29], s[2:3], s[28:29]
	s_mul_hi_u32 s21, s23, s26
	s_mul_hi_u32 s31, s23, s27
	s_add_co_u32 s2, s28, s30
	s_wait_alu 0xfffe
	s_add_co_ci_u32 s2, s29, s21
	s_mul_i32 s26, s23, s27
	s_add_co_ci_u32 s27, s31, 0
	s_wait_alu 0xfffe
	s_add_nc_u64 s[26:27], s[2:3], s[26:27]
	s_wait_alu 0xfffe
	v_add_co_u32 v4, s2, s22, s26
	s_delay_alu instid0(VALU_DEP_1) | instskip(SKIP_1) | instid1(VALU_DEP_1)
	s_cmp_lg_u32 s2, 0
	s_add_co_ci_u32 s23, s23, s27
	v_readfirstlane_b32 s22, v4
	s_wait_alu 0xfffe
	s_delay_alu instid0(VALU_DEP_1)
	s_mul_u64 s[24:25], s[24:25], s[22:23]
	s_wait_alu 0xfffe
	s_mul_hi_u32 s27, s22, s25
	s_mul_i32 s26, s22, s25
	s_mul_hi_u32 s2, s22, s24
	s_mul_i32 s28, s23, s24
	s_wait_alu 0xfffe
	s_add_nc_u64 s[26:27], s[2:3], s[26:27]
	s_mul_hi_u32 s21, s23, s24
	s_mul_hi_u32 s22, s23, s25
	s_wait_alu 0xfffe
	s_add_co_u32 s2, s26, s28
	s_add_co_ci_u32 s2, s27, s21
	s_mul_i32 s24, s23, s25
	s_add_co_ci_u32 s25, s22, 0
	s_wait_alu 0xfffe
	s_add_nc_u64 s[24:25], s[2:3], s[24:25]
	s_wait_alu 0xfffe
	v_add_co_u32 v4, s2, v4, s24
	s_delay_alu instid0(VALU_DEP_1) | instskip(SKIP_1) | instid1(VALU_DEP_1)
	s_cmp_lg_u32 s2, 0
	s_add_co_ci_u32 s2, s23, s25
	v_mul_hi_u32 v13, v5, v4
	s_wait_alu 0xfffe
	v_mad_co_u64_u32 v[7:8], null, v5, s2, 0
	v_mad_co_u64_u32 v[9:10], null, v6, v4, 0
	;; [unrolled: 1-line block ×3, first 2 shown]
	s_delay_alu instid0(VALU_DEP_3) | instskip(SKIP_1) | instid1(VALU_DEP_4)
	v_add_co_u32 v4, vcc_lo, v13, v7
	s_wait_alu 0xfffd
	v_add_co_ci_u32_e32 v7, vcc_lo, 0, v8, vcc_lo
	s_delay_alu instid0(VALU_DEP_2) | instskip(SKIP_1) | instid1(VALU_DEP_2)
	v_add_co_u32 v4, vcc_lo, v4, v9
	s_wait_alu 0xfffd
	v_add_co_ci_u32_e32 v4, vcc_lo, v7, v10, vcc_lo
	s_wait_alu 0xfffd
	v_add_co_ci_u32_e32 v7, vcc_lo, 0, v12, vcc_lo
	s_delay_alu instid0(VALU_DEP_2) | instskip(SKIP_1) | instid1(VALU_DEP_2)
	v_add_co_u32 v4, vcc_lo, v4, v11
	s_wait_alu 0xfffd
	v_add_co_ci_u32_e32 v9, vcc_lo, 0, v7, vcc_lo
	s_delay_alu instid0(VALU_DEP_2) | instskip(SKIP_1) | instid1(VALU_DEP_3)
	v_mul_lo_u32 v10, s19, v4
	v_mad_co_u64_u32 v[7:8], null, s18, v4, 0
	v_mul_lo_u32 v11, s18, v9
	s_delay_alu instid0(VALU_DEP_2) | instskip(NEXT) | instid1(VALU_DEP_2)
	v_sub_co_u32 v7, vcc_lo, v5, v7
	v_add3_u32 v8, v8, v11, v10
	s_delay_alu instid0(VALU_DEP_1) | instskip(SKIP_1) | instid1(VALU_DEP_1)
	v_sub_nc_u32_e32 v10, v6, v8
	s_wait_alu 0xfffd
	v_subrev_co_ci_u32_e64 v10, s2, s19, v10, vcc_lo
	v_add_co_u32 v11, s2, v4, 2
	s_wait_alu 0xf1ff
	v_add_co_ci_u32_e64 v12, s2, 0, v9, s2
	v_sub_co_u32 v13, s2, v7, s18
	v_sub_co_ci_u32_e32 v8, vcc_lo, v6, v8, vcc_lo
	s_wait_alu 0xf1ff
	v_subrev_co_ci_u32_e64 v10, s2, 0, v10, s2
	s_delay_alu instid0(VALU_DEP_3) | instskip(NEXT) | instid1(VALU_DEP_3)
	v_cmp_le_u32_e32 vcc_lo, s18, v13
	v_cmp_eq_u32_e64 s2, s19, v8
	s_wait_alu 0xfffd
	v_cndmask_b32_e64 v13, 0, -1, vcc_lo
	v_cmp_le_u32_e32 vcc_lo, s19, v10
	s_wait_alu 0xfffd
	v_cndmask_b32_e64 v14, 0, -1, vcc_lo
	v_cmp_le_u32_e32 vcc_lo, s18, v7
	;; [unrolled: 3-line block ×3, first 2 shown]
	s_wait_alu 0xfffd
	v_cndmask_b32_e64 v15, 0, -1, vcc_lo
	v_cmp_eq_u32_e32 vcc_lo, s19, v10
	s_wait_alu 0xf1ff
	s_delay_alu instid0(VALU_DEP_2)
	v_cndmask_b32_e64 v7, v15, v7, s2
	s_wait_alu 0xfffd
	v_cndmask_b32_e32 v10, v14, v13, vcc_lo
	v_add_co_u32 v13, vcc_lo, v4, 1
	s_wait_alu 0xfffd
	v_add_co_ci_u32_e32 v14, vcc_lo, 0, v9, vcc_lo
	s_delay_alu instid0(VALU_DEP_3) | instskip(SKIP_2) | instid1(VALU_DEP_3)
	v_cmp_ne_u32_e32 vcc_lo, 0, v10
	s_wait_alu 0xfffd
	v_cndmask_b32_e32 v10, v13, v11, vcc_lo
	v_cndmask_b32_e32 v8, v14, v12, vcc_lo
	v_cmp_ne_u32_e32 vcc_lo, 0, v7
	s_wait_alu 0xfffd
	s_delay_alu instid0(VALU_DEP_2)
	v_dual_cndmask_b32 v7, v4, v10 :: v_dual_cndmask_b32 v8, v9, v8
.LBB0_4:                                ;   in Loop: Header=BB0_2 Depth=1
	s_wait_alu 0xfffe
	s_and_not1_saveexec_b32 s2, s20
	s_cbranch_execz .LBB0_6
; %bb.5:                                ;   in Loop: Header=BB0_2 Depth=1
	v_cvt_f32_u32_e32 v4, s18
	s_sub_co_i32 s20, 0, s18
	s_delay_alu instid0(VALU_DEP_1) | instskip(NEXT) | instid1(TRANS32_DEP_1)
	v_rcp_iflag_f32_e32 v4, v4
	v_mul_f32_e32 v4, 0x4f7ffffe, v4
	s_delay_alu instid0(VALU_DEP_1) | instskip(SKIP_1) | instid1(VALU_DEP_1)
	v_cvt_u32_f32_e32 v4, v4
	s_wait_alu 0xfffe
	v_mul_lo_u32 v7, s20, v4
	s_delay_alu instid0(VALU_DEP_1) | instskip(NEXT) | instid1(VALU_DEP_1)
	v_mul_hi_u32 v7, v4, v7
	v_add_nc_u32_e32 v4, v4, v7
	s_delay_alu instid0(VALU_DEP_1) | instskip(NEXT) | instid1(VALU_DEP_1)
	v_mul_hi_u32 v4, v5, v4
	v_mul_lo_u32 v7, v4, s18
	v_add_nc_u32_e32 v8, 1, v4
	s_delay_alu instid0(VALU_DEP_2) | instskip(NEXT) | instid1(VALU_DEP_1)
	v_sub_nc_u32_e32 v7, v5, v7
	v_subrev_nc_u32_e32 v9, s18, v7
	v_cmp_le_u32_e32 vcc_lo, s18, v7
	s_wait_alu 0xfffd
	s_delay_alu instid0(VALU_DEP_2) | instskip(NEXT) | instid1(VALU_DEP_1)
	v_dual_cndmask_b32 v7, v7, v9 :: v_dual_cndmask_b32 v4, v4, v8
	v_cmp_le_u32_e32 vcc_lo, s18, v7
	s_delay_alu instid0(VALU_DEP_2) | instskip(SKIP_1) | instid1(VALU_DEP_1)
	v_add_nc_u32_e32 v8, 1, v4
	s_wait_alu 0xfffd
	v_dual_cndmask_b32 v7, v4, v8 :: v_dual_mov_b32 v8, v3
.LBB0_6:                                ;   in Loop: Header=BB0_2 Depth=1
	s_wait_alu 0xfffe
	s_or_b32 exec_lo, exec_lo, s2
	s_load_b64 s[20:21], s[12:13], 0x0
	s_delay_alu instid0(VALU_DEP_1)
	v_mul_lo_u32 v4, v8, s18
	v_mul_lo_u32 v11, v7, s19
	v_mad_co_u64_u32 v[9:10], null, v7, s18, 0
	s_add_nc_u64 s[14:15], s[14:15], 1
	s_add_nc_u64 s[12:13], s[12:13], 8
	s_wait_alu 0xfffe
	v_cmp_ge_u64_e64 s2, s[14:15], s[6:7]
	s_add_nc_u64 s[16:17], s[16:17], 8
	s_delay_alu instid0(VALU_DEP_2) | instskip(NEXT) | instid1(VALU_DEP_3)
	v_add3_u32 v4, v10, v11, v4
	v_sub_co_u32 v5, vcc_lo, v5, v9
	s_wait_alu 0xfffd
	s_delay_alu instid0(VALU_DEP_2) | instskip(SKIP_3) | instid1(VALU_DEP_2)
	v_sub_co_ci_u32_e32 v4, vcc_lo, v6, v4, vcc_lo
	s_and_b32 vcc_lo, exec_lo, s2
	s_wait_kmcnt 0x0
	v_mul_lo_u32 v6, s21, v5
	v_mul_lo_u32 v4, s20, v4
	v_mad_co_u64_u32 v[1:2], null, s20, v5, v[1:2]
	s_delay_alu instid0(VALU_DEP_1)
	v_add3_u32 v2, v6, v2, v4
	s_wait_alu 0xfffe
	s_cbranch_vccnz .LBB0_9
; %bb.7:                                ;   in Loop: Header=BB0_2 Depth=1
	v_dual_mov_b32 v5, v7 :: v_dual_mov_b32 v6, v8
	s_branch .LBB0_2
.LBB0_8:
	v_dual_mov_b32 v8, v6 :: v_dual_mov_b32 v7, v5
.LBB0_9:
	s_lshl_b64 s[2:3], s[6:7], 3
	v_mul_hi_u32 v5, 0x4924925, v0
	s_wait_alu 0xfffe
	s_add_nc_u64 s[2:3], s[10:11], s[2:3]
	s_load_b64 s[2:3], s[2:3], 0x0
	s_load_b64 s[0:1], s[0:1], 0x20
	s_wait_kmcnt 0x0
	v_mul_lo_u32 v3, s2, v8
	v_mul_lo_u32 v4, s3, v7
	v_mad_co_u64_u32 v[1:2], null, s2, v7, v[1:2]
	v_cmp_gt_u64_e32 vcc_lo, s[0:1], v[7:8]
	s_delay_alu instid0(VALU_DEP_2) | instskip(SKIP_1) | instid1(VALU_DEP_2)
	v_add3_u32 v2, v4, v2, v3
	v_mul_u32_u24_e32 v3, 56, v5
	v_lshlrev_b64_e32 v[42:43], 3, v[1:2]
	s_delay_alu instid0(VALU_DEP_2)
	v_sub_nc_u32_e32 v40, v0, v3
	s_and_saveexec_b32 s1, vcc_lo
	s_cbranch_execz .LBB0_13
; %bb.10:
	s_delay_alu instid0(VALU_DEP_1)
	v_lshl_add_u32 v32, v40, 3, 0
	v_mov_b32_e32 v41, 0
	v_add_co_u32 v0, s0, s8, v42
	s_wait_alu 0xf1ff
	v_add_co_ci_u32_e64 v1, s0, s9, v43, s0
	v_add_nc_u32_e32 v34, 0x800, v32
	v_lshlrev_b64_e32 v[2:3], 3, v[40:41]
	v_add_nc_u32_e32 v33, 0x400, v32
	s_mov_b32 s2, exec_lo
	v_add_nc_u32_e32 v35, 0x1000, v32
	s_delay_alu instid0(VALU_DEP_3)
	v_add_co_u32 v2, s0, v0, v2
	s_wait_alu 0xf1ff
	v_add_co_ci_u32_e64 v3, s0, v1, v3, s0
	s_clause 0xe
	global_load_b64 v[4:5], v[2:3], off
	global_load_b64 v[6:7], v[2:3], off offset:448
	global_load_b64 v[8:9], v[2:3], off offset:896
	;; [unrolled: 1-line block ×14, first 2 shown]
	s_wait_loadcnt 0xd
	ds_store_2addr_b64 v32, v[4:5], v[6:7] offset1:56
	s_wait_loadcnt 0xb
	ds_store_2addr_b64 v32, v[8:9], v[10:11] offset0:112 offset1:168
	s_wait_loadcnt 0x9
	ds_store_2addr_b64 v33, v[12:13], v[14:15] offset0:96 offset1:152
	;; [unrolled: 2-line block ×6, first 2 shown]
	s_wait_loadcnt 0x0
	ds_store_b64 v32, v[2:3] offset:6272
	v_cmpx_eq_u32_e32 55, v40
	s_cbranch_execz .LBB0_12
; %bb.11:
	global_load_b64 v[0:1], v[0:1], off offset:6720
	v_mov_b32_e32 v40, 55
	s_wait_loadcnt 0x0
	ds_store_b64 v41, v[0:1] offset:6720
.LBB0_12:
	s_wait_alu 0xfffe
	s_or_b32 exec_lo, exec_lo, s2
.LBB0_13:
	s_wait_alu 0xfffe
	s_or_b32 exec_lo, exec_lo, s1
	v_lshlrev_b32_e32 v0, 3, v40
	global_wb scope:SCOPE_SE
	s_wait_dscnt 0x0
	s_barrier_signal -1
	s_barrier_wait -1
	global_inv scope:SCOPE_SE
	v_add_nc_u32_e32 v46, 0, v0
	v_sub_nc_u32_e32 v4, 0, v0
	s_mov_b32 s1, exec_lo
                                        ; implicit-def: $vgpr0_vgpr1
	ds_load_b32 v5, v46
	ds_load_b32 v6, v4 offset:6720
	s_wait_dscnt 0x0
	v_dual_sub_f32 v3, v5, v6 :: v_dual_add_f32 v2, v6, v5
	v_cmpx_ne_u32_e32 0, v40
	s_wait_alu 0xfffe
	s_xor_b32 s1, exec_lo, s1
	s_cbranch_execz .LBB0_15
; %bb.14:
	v_dual_mov_b32 v41, 0 :: v_dual_sub_f32 v8, v5, v6
	s_delay_alu instid0(VALU_DEP_1) | instskip(NEXT) | instid1(VALU_DEP_1)
	v_lshlrev_b64_e32 v[0:1], 3, v[40:41]
	v_add_co_u32 v0, s0, s4, v0
	s_wait_alu 0xf1ff
	s_delay_alu instid0(VALU_DEP_2)
	v_add_co_ci_u32_e64 v1, s0, s5, v1, s0
	global_load_b64 v[0:1], v[0:1], off offset:6704
	ds_load_b32 v2, v4 offset:6724
	ds_load_b32 v3, v46 offset:4
	v_add_f32_e32 v7, v6, v5
	s_wait_dscnt 0x0
	v_dual_add_f32 v9, v2, v3 :: v_dual_sub_f32 v2, v3, v2
	s_wait_loadcnt 0x0
	s_delay_alu instid0(VALU_DEP_2) | instskip(NEXT) | instid1(VALU_DEP_2)
	v_fma_f32 v5, -v8, v1, v7
	v_fma_f32 v6, v9, v1, -v2
	v_fma_f32 v10, v8, v1, v7
	s_delay_alu instid0(VALU_DEP_2) | instskip(SKIP_2) | instid1(VALU_DEP_4)
	v_fmac_f32_e32 v6, v8, v0
	v_fma_f32 v3, v9, v1, v2
	v_fmac_f32_e32 v5, v0, v9
	v_fma_f32 v2, -v0, v9, v10
	s_delay_alu instid0(VALU_DEP_3)
	v_fmac_f32_e32 v3, v8, v0
	v_dual_mov_b32 v0, v40 :: v_dual_mov_b32 v1, v41
	ds_store_b64 v4, v[5:6] offset:6720
.LBB0_15:
	s_wait_alu 0xfffe
	s_and_not1_saveexec_b32 s0, s1
	s_cbranch_execz .LBB0_17
; %bb.16:
	v_mov_b32_e32 v7, 0
	ds_load_b64 v[0:1], v7 offset:3360
	s_wait_dscnt 0x0
	v_dual_mul_f32 v6, -2.0, v1 :: v_dual_add_f32 v5, v0, v0
	v_mov_b32_e32 v0, 0
	v_mov_b32_e32 v1, 0
	ds_store_b64 v7, v[5:6] offset:3360
.LBB0_17:
	s_wait_alu 0xfffe
	s_or_b32 exec_lo, exec_lo, s0
	v_lshlrev_b64_e32 v[0:1], 3, v[0:1]
	s_add_nc_u64 s[0:1], s[4:5], 0x1a30
	s_wait_alu 0xfffe
	s_delay_alu instid0(VALU_DEP_1) | instskip(SKIP_1) | instid1(VALU_DEP_2)
	v_add_co_u32 v0, s0, s0, v0
	s_wait_alu 0xf1ff
	v_add_co_ci_u32_e64 v1, s0, s1, v1, s0
	v_cmp_gt_u32_e64 s0, 28, v40
	s_clause 0x5
	global_load_b64 v[5:6], v[0:1], off offset:448
	global_load_b64 v[7:8], v[0:1], off offset:896
	;; [unrolled: 1-line block ×6, first 2 shown]
	ds_store_b64 v46, v[2:3]
	ds_load_b64 v[2:3], v46 offset:448
	ds_load_b64 v[17:18], v4 offset:6272
	s_wait_dscnt 0x0
	v_add_f32_e32 v19, v2, v17
	v_sub_f32_e32 v21, v2, v17
	v_add_f32_e32 v20, v18, v3
	v_sub_f32_e32 v2, v3, v18
	s_wait_loadcnt 0x5
	s_delay_alu instid0(VALU_DEP_1) | instskip(SKIP_2) | instid1(VALU_DEP_3)
	v_fma_f32 v3, v20, v6, v2
	v_fma_f32 v22, v21, v6, v19
	v_fma_f32 v17, -v21, v6, v19
	v_fmac_f32_e32 v3, v21, v5
	v_fma_f32 v18, v20, v6, -v2
	s_delay_alu instid0(VALU_DEP_4) | instskip(NEXT) | instid1(VALU_DEP_4)
	v_fma_f32 v2, -v5, v20, v22
	v_fmac_f32_e32 v17, v5, v20
	s_delay_alu instid0(VALU_DEP_3)
	v_fmac_f32_e32 v18, v21, v5
	ds_store_b64 v46, v[2:3] offset:448
	ds_store_b64 v4, v[17:18] offset:6272
	ds_load_b64 v[2:3], v46 offset:896
	ds_load_b64 v[5:6], v4 offset:5824
	s_wait_dscnt 0x0
	v_add_f32_e32 v18, v6, v3
	v_sub_f32_e32 v19, v2, v5
	v_dual_add_f32 v17, v2, v5 :: v_dual_sub_f32 v2, v3, v6
	s_wait_loadcnt 0x4
	s_delay_alu instid0(VALU_DEP_1) | instskip(SKIP_1) | instid1(VALU_DEP_2)
	v_fma_f32 v6, v18, v8, -v2
	v_fma_f32 v3, v18, v8, v2
	v_fmac_f32_e32 v6, v19, v7
	v_fma_f32 v20, v19, v8, v17
	v_fma_f32 v5, -v19, v8, v17
	s_delay_alu instid0(VALU_DEP_4) | instskip(NEXT) | instid1(VALU_DEP_3)
	v_fmac_f32_e32 v3, v19, v7
	v_fma_f32 v2, -v7, v18, v20
	s_delay_alu instid0(VALU_DEP_3)
	v_fmac_f32_e32 v5, v7, v18
	ds_store_b64 v46, v[2:3] offset:896
	ds_store_b64 v4, v[5:6] offset:5824
	ds_load_b64 v[2:3], v46 offset:1344
	ds_load_b64 v[5:6], v4 offset:5376
	s_wait_dscnt 0x0
	v_add_f32_e32 v8, v6, v3
	v_add_f32_e32 v7, v2, v5
	v_dual_sub_f32 v17, v2, v5 :: v_dual_sub_f32 v2, v3, v6
	s_wait_loadcnt 0x3
	s_delay_alu instid0(VALU_DEP_1) | instskip(NEXT) | instid1(VALU_DEP_2)
	v_fma_f32 v18, v17, v10, v7
	v_fma_f32 v3, v8, v10, v2
	v_fma_f32 v5, -v17, v10, v7
	v_fma_f32 v6, v8, v10, -v2
	s_delay_alu instid0(VALU_DEP_4) | instskip(NEXT) | instid1(VALU_DEP_4)
	v_fma_f32 v2, -v9, v8, v18
	v_fmac_f32_e32 v3, v17, v9
	s_delay_alu instid0(VALU_DEP_4) | instskip(NEXT) | instid1(VALU_DEP_4)
	v_fmac_f32_e32 v5, v9, v8
	v_fmac_f32_e32 v6, v17, v9
	ds_store_b64 v46, v[2:3] offset:1344
	ds_store_b64 v4, v[5:6] offset:5376
	ds_load_b64 v[2:3], v46 offset:1792
	ds_load_b64 v[5:6], v4 offset:4928
	s_wait_dscnt 0x0
	v_add_f32_e32 v7, v2, v5
	v_add_f32_e32 v8, v6, v3
	v_dual_sub_f32 v9, v2, v5 :: v_dual_sub_f32 v2, v3, v6
	s_wait_loadcnt 0x2
	s_delay_alu instid0(VALU_DEP_1) | instskip(NEXT) | instid1(VALU_DEP_2)
	v_fma_f32 v10, v9, v12, v7
	v_fma_f32 v3, v8, v12, v2
	v_fma_f32 v5, -v9, v12, v7
	v_fma_f32 v6, v8, v12, -v2
	s_delay_alu instid0(VALU_DEP_4) | instskip(NEXT) | instid1(VALU_DEP_4)
	v_fma_f32 v2, -v11, v8, v10
	v_fmac_f32_e32 v3, v9, v11
	s_delay_alu instid0(VALU_DEP_3)
	v_dual_fmac_f32 v5, v11, v8 :: v_dual_fmac_f32 v6, v9, v11
	ds_store_b64 v46, v[2:3] offset:1792
	ds_store_b64 v4, v[5:6] offset:4928
	ds_load_b64 v[2:3], v46 offset:2240
	ds_load_b64 v[5:6], v4 offset:4480
	s_wait_dscnt 0x0
	v_add_f32_e32 v7, v2, v5
	v_sub_f32_e32 v9, v2, v5
	v_add_f32_e32 v8, v6, v3
	v_sub_f32_e32 v2, v3, v6
	s_wait_loadcnt 0x1
	s_delay_alu instid0(VALU_DEP_3) | instskip(SKIP_1) | instid1(VALU_DEP_3)
	v_fma_f32 v10, v9, v14, v7
	v_fma_f32 v5, -v9, v14, v7
	v_fma_f32 v3, v8, v14, v2
	s_delay_alu instid0(VALU_DEP_1) | instskip(SKIP_3) | instid1(VALU_DEP_3)
	v_fmac_f32_e32 v3, v9, v13
	v_fma_f32 v6, v8, v14, -v2
	v_fma_f32 v2, -v13, v8, v10
	v_fmac_f32_e32 v5, v13, v8
	v_fmac_f32_e32 v6, v9, v13
	ds_store_b64 v46, v[2:3] offset:2240
	ds_store_b64 v4, v[5:6] offset:4480
	ds_load_b64 v[2:3], v46 offset:2688
	ds_load_b64 v[5:6], v4 offset:4032
	s_wait_dscnt 0x0
	v_add_f32_e32 v7, v2, v5
	v_add_f32_e32 v8, v6, v3
	v_dual_sub_f32 v9, v2, v5 :: v_dual_sub_f32 v2, v3, v6
	s_wait_loadcnt 0x0
	s_delay_alu instid0(VALU_DEP_1) | instskip(NEXT) | instid1(VALU_DEP_2)
	v_fma_f32 v10, v9, v16, v7
	v_fma_f32 v3, v8, v16, v2
	v_fma_f32 v5, -v9, v16, v7
	v_fma_f32 v6, v8, v16, -v2
	s_delay_alu instid0(VALU_DEP_4) | instskip(NEXT) | instid1(VALU_DEP_4)
	v_fma_f32 v2, -v15, v8, v10
	v_fmac_f32_e32 v3, v9, v15
	s_delay_alu instid0(VALU_DEP_3)
	v_dual_fmac_f32 v5, v15, v8 :: v_dual_fmac_f32 v6, v9, v15
	ds_store_b64 v46, v[2:3] offset:2688
	ds_store_b64 v4, v[5:6] offset:4032
	s_and_saveexec_b32 s1, s0
	s_cbranch_execz .LBB0_19
; %bb.18:
	global_load_b64 v[0:1], v[0:1], off offset:3136
	ds_load_b64 v[2:3], v46 offset:3136
	ds_load_b64 v[5:6], v4 offset:3584
	s_wait_dscnt 0x0
	v_dual_add_f32 v8, v6, v3 :: v_dual_sub_f32 v3, v3, v6
	v_sub_f32_e32 v9, v2, v5
	v_add_f32_e32 v7, v2, v5
	s_wait_loadcnt 0x0
	s_delay_alu instid0(VALU_DEP_3) | instskip(SKIP_1) | instid1(VALU_DEP_2)
	v_fma_f32 v2, v8, v1, v3
	v_fma_f32 v6, v8, v1, -v3
	v_fmac_f32_e32 v2, v9, v0
	v_fma_f32 v10, v9, v1, v7
	v_fma_f32 v5, -v9, v1, v7
	s_delay_alu instid0(VALU_DEP_4) | instskip(NEXT) | instid1(VALU_DEP_3)
	v_fmac_f32_e32 v6, v9, v0
	v_fma_f32 v1, -v0, v8, v10
	s_delay_alu instid0(VALU_DEP_3)
	v_fmac_f32_e32 v5, v0, v8
	ds_store_b64 v46, v[1:2] offset:3136
	ds_store_b64 v4, v[5:6] offset:3584
.LBB0_19:
	s_wait_alu 0xfffe
	s_or_b32 exec_lo, exec_lo, s1
	v_add_nc_u32_e32 v0, 0x800, v46
	global_wb scope:SCOPE_SE
	s_wait_dscnt 0x0
	s_barrier_signal -1
	s_barrier_wait -1
	global_inv scope:SCOPE_SE
	global_wb scope:SCOPE_SE
	s_barrier_signal -1
	s_barrier_wait -1
	global_inv scope:SCOPE_SE
	ds_load_2addr_b64 v[1:4], v46 offset1:56
	ds_load_2addr_b64 v[5:8], v0 offset0:164 offset1:220
	v_add_nc_u32_e32 v24, 0x1000, v46
	v_add_nc_u32_e32 v9, 0x1400, v46
	;; [unrolled: 1-line block ×3, first 2 shown]
	v_lshl_add_u32 v11, v40, 4, 0
	s_wait_dscnt 0x0
	v_dual_sub_f32 v6, v2, v6 :: v_dual_sub_f32 v7, v3, v7
	ds_load_2addr_b64 v[13:16], v46 offset0:112 offset1:168
	ds_load_2addr_b64 v[17:20], v24 offset0:20 offset1:76
	v_add_nc_u32_e32 v12, 0x400, v46
	ds_load_2addr_b64 v[25:28], v12 offset0:96 offset1:152
	ds_load_2addr_b64 v[36:39], v24 offset0:132 offset1:188
	v_dual_sub_f32 v5, v1, v5 :: v_dual_sub_f32 v8, v4, v8
	ds_load_2addr_b64 v[49:52], v0 offset0:80 offset1:136
	ds_load_2addr_b64 v[53:56], v9 offset0:116 offset1:172
	v_add_nc_u32_e32 v32, 56, v40
	v_add_nc_u32_e32 v34, 0xa8, v40
	;; [unrolled: 1-line block ×4, first 2 shown]
	v_fma_f32 v1, v1, 2.0, -v5
	v_fma_f32 v2, v2, 2.0, -v6
	;; [unrolled: 1-line block ×4, first 2 shown]
	v_add_nc_u32_e32 v35, 0x118, v40
	s_wait_dscnt 0x4
	v_dual_sub_f32 v9, v13, v17 :: v_dual_add_nc_u32 v48, 0x150, v40
	v_dual_sub_f32 v10, v14, v18 :: v_dual_sub_f32 v17, v15, v19
	v_sub_f32_e32 v18, v16, v20
	v_lshl_add_u32 v23, v32, 4, 0
	s_delay_alu instid0(VALU_DEP_4)
	v_fma_f32 v13, v13, 2.0, -v9
	s_wait_dscnt 0x2
	v_sub_f32_e32 v19, v25, v36
	v_dual_sub_f32 v21, v27, v38 :: v_dual_sub_f32 v22, v28, v39
	s_wait_dscnt 0x0
	v_sub_f32_e32 v30, v51, v55
	v_dual_sub_f32 v38, v49, v53 :: v_dual_sub_f32 v31, v52, v56
	v_sub_f32_e32 v20, v26, v37
	v_sub_f32_e32 v39, v50, v54
	v_fma_f32 v14, v14, 2.0, -v10
	v_fma_f32 v37, v28, 2.0, -v22
	;; [unrolled: 1-line block ×4, first 2 shown]
	global_wb scope:SCOPE_SE
	s_barrier_signal -1
	s_barrier_wait -1
	global_inv scope:SCOPE_SE
	ds_store_2addr_b64 v11, v[1:2], v[5:6] offset1:1
	ds_store_2addr_b64 v23, v[3:4], v[7:8] offset1:1
	v_lshl_add_u32 v1, v41, 4, 0
	v_fma_f32 v15, v15, 2.0, -v17
	v_fma_f32 v16, v16, 2.0, -v18
	v_lshl_add_u32 v2, v34, 4, 0
	v_fma_f32 v25, v25, 2.0, -v19
	v_fma_f32 v26, v26, 2.0, -v20
	v_lshl_add_u32 v3, v33, 4, 0
	v_fma_f32 v36, v27, 2.0, -v21
	v_lshl_add_u32 v4, v35, 4, 0
	v_fma_f32 v44, v49, 2.0, -v38
	v_fma_f32 v45, v50, 2.0, -v39
	v_lshl_add_u32 v5, v48, 4, 0
	ds_store_2addr_b64 v1, v[13:14], v[9:10] offset1:1
	ds_store_2addr_b64 v2, v[15:16], v[17:18] offset1:1
	;; [unrolled: 1-line block ×5, first 2 shown]
	s_and_saveexec_b32 s1, s0
	s_cbranch_execz .LBB0_21
; %bb.20:
	v_lshl_add_u32 v1, v47, 4, 0
	ds_store_2addr_b64 v1, v[28:29], v[30:31] offset1:1
.LBB0_21:
	s_wait_alu 0xfffe
	s_or_b32 exec_lo, exec_lo, s1
	v_add_nc_u32_e32 v8, 0xc00, v46
	global_wb scope:SCOPE_SE
	s_wait_dscnt 0x0
	s_barrier_signal -1
	s_barrier_wait -1
	global_inv scope:SCOPE_SE
	ds_load_2addr_b64 v[4:7], v46 offset1:56
	ds_load_2addr_b64 v[0:3], v0 offset0:80 offset1:164
	ds_load_2addr_b64 v[16:19], v8 offset0:92 offset1:148
	;; [unrolled: 1-line block ×6, first 2 shown]
	v_lshlrev_b32_e32 v45, 1, v40
	v_lshlrev_b32_e32 v44, 1, v32
	;; [unrolled: 1-line block ×7, first 2 shown]
	s_and_saveexec_b32 s1, s0
	s_cbranch_execz .LBB0_23
; %bb.22:
	ds_load_b64 v[28:29], v46 offset:3136
	ds_load_b64 v[30:31], v46 offset:6496
.LBB0_23:
	s_wait_alu 0xfffe
	s_or_b32 exec_lo, exec_lo, s1
	v_and_b32_e32 v48, 1, v40
	s_delay_alu instid0(VALU_DEP_1)
	v_lshlrev_b32_e32 v49, 3, v48
	global_load_b64 v[49:50], v49, s[4:5]
	v_lshlrev_b32_e32 v47, 1, v47
	global_wb scope:SCOPE_SE
	s_wait_loadcnt_dscnt 0x0
	s_barrier_signal -1
	s_barrier_wait -1
	global_inv scope:SCOPE_SE
	v_mul_f32_e32 v60, v50, v17
	v_mul_f32_e32 v58, v50, v3
	v_dual_mul_f32 v61, v50, v16 :: v_dual_mul_f32 v72, v31, v50
	v_mul_f32_e32 v62, v50, v19
	v_mul_f32_e32 v59, v50, v2
	;; [unrolled: 1-line block ×3, first 2 shown]
	v_fma_f32 v2, v49, v2, -v58
	v_fmac_f32_e32 v61, v49, v17
	v_fma_f32 v18, v49, v18, -v62
	v_dual_mul_f32 v64, v50, v21 :: v_dual_fmac_f32 v59, v49, v3
	s_delay_alu instid0(VALU_DEP_4)
	v_dual_mul_f32 v65, v50, v20 :: v_dual_sub_f32 v2, v4, v2
	v_mul_f32_e32 v66, v50, v23
	v_mul_f32_e32 v67, v50, v22
	;; [unrolled: 1-line block ×3, first 2 shown]
	v_dual_mul_f32 v69, v50, v24 :: v_dual_sub_f32 v18, v8, v18
	v_mul_f32_e32 v70, v50, v27
	v_mul_f32_e32 v71, v50, v26
	v_dual_mul_f32 v50, v30, v50 :: v_dual_fmac_f32 v67, v49, v23
	v_fma_f32 v30, v30, v49, -v72
	v_fma_f32 v16, v49, v16, -v60
	;; [unrolled: 1-line block ×3, first 2 shown]
	s_delay_alu instid0(VALU_DEP_4)
	v_dual_fmac_f32 v50, v31, v49 :: v_dual_fmac_f32 v63, v49, v19
	v_fmac_f32_e32 v65, v49, v21
	v_fma_f32 v22, v49, v22, -v66
	v_and_or_b32 v51, 0x7c, v45, v48
	v_fma_f32 v24, v49, v24, -v68
	v_fmac_f32_e32 v69, v49, v25
	v_fma_f32 v26, v49, v26, -v70
	v_dual_fmac_f32 v71, v49, v27 :: v_dual_sub_f32 v16, v6, v16
	v_dual_sub_f32 v3, v5, v59 :: v_dual_sub_f32 v20, v10, v20
	v_dual_sub_f32 v23, v13, v67 :: v_dual_sub_f32 v30, v28, v30
	v_sub_f32_e32 v31, v29, v50
	v_and_or_b32 v52, 0xfc, v44, v48
	v_dual_sub_f32 v17, v7, v61 :: v_dual_sub_f32 v22, v12, v22
	v_and_or_b32 v53, 0x1fc, v39, v48
	v_dual_sub_f32 v19, v9, v63 :: v_dual_sub_f32 v24, v14, v24
	v_and_or_b32 v54, 0x1fc, v38, v48
	v_dual_sub_f32 v21, v11, v65 :: v_dual_sub_f32 v26, v0, v26
	v_and_or_b32 v55, 0x3fc, v37, v48
	v_and_or_b32 v56, 0x2fc, v36, v48
	;; [unrolled: 1-line block ×3, first 2 shown]
	v_lshl_add_u32 v51, v51, 3, 0
	v_sub_f32_e32 v25, v15, v69
	v_sub_f32_e32 v27, v1, v71
	v_fma_f32 v4, v4, 2.0, -v2
	v_fma_f32 v5, v5, 2.0, -v3
	;; [unrolled: 1-line block ×4, first 2 shown]
	v_lshl_add_u32 v52, v52, 3, 0
	v_fma_f32 v6, v6, 2.0, -v16
	v_fma_f32 v7, v7, 2.0, -v17
	v_lshl_add_u32 v53, v53, 3, 0
	v_fma_f32 v8, v8, 2.0, -v18
	v_fma_f32 v9, v9, 2.0, -v19
	;; [unrolled: 3-line block ×4, first 2 shown]
	v_lshl_add_u32 v56, v56, 3, 0
	v_lshl_add_u32 v57, v57, 3, 0
	v_fma_f32 v14, v14, 2.0, -v24
	v_fma_f32 v15, v15, 2.0, -v25
	;; [unrolled: 1-line block ×4, first 2 shown]
	ds_store_2addr_b64 v51, v[4:5], v[2:3] offset1:2
	ds_store_2addr_b64 v52, v[6:7], v[16:17] offset1:2
	;; [unrolled: 1-line block ×7, first 2 shown]
	s_and_saveexec_b32 s1, s0
	s_cbranch_execz .LBB0_25
; %bb.24:
	v_and_or_b32 v0, 0x37c, v47, v48
	s_delay_alu instid0(VALU_DEP_1)
	v_lshl_add_u32 v0, v0, 3, 0
	ds_store_2addr_b64 v0, v[28:29], v[30:31] offset1:2
.LBB0_25:
	s_wait_alu 0xfffe
	s_or_b32 exec_lo, exec_lo, s1
	v_add_nc_u32_e32 v0, 0x800, v46
	v_add_nc_u32_e32 v8, 0xc00, v46
	;; [unrolled: 1-line block ×4, first 2 shown]
	global_wb scope:SCOPE_SE
	s_wait_dscnt 0x0
	s_barrier_signal -1
	s_barrier_wait -1
	global_inv scope:SCOPE_SE
	ds_load_2addr_b64 v[4:7], v46 offset1:56
	ds_load_2addr_b64 v[0:3], v0 offset0:80 offset1:164
	ds_load_2addr_b64 v[24:27], v8 offset0:92 offset1:148
	ds_load_2addr_b64 v[12:15], v46 offset0:112 offset1:168
	ds_load_2addr_b64 v[16:19], v20 offset0:76 offset1:132
	ds_load_2addr_b64 v[8:11], v9 offset0:96 offset1:152
	ds_load_2addr_b64 v[20:23], v20 offset0:188 offset1:244
	s_and_saveexec_b32 s1, s0
	s_cbranch_execz .LBB0_27
; %bb.26:
	ds_load_b64 v[28:29], v46 offset:3136
	ds_load_b64 v[30:31], v46 offset:6496
.LBB0_27:
	s_wait_alu 0xfffe
	s_or_b32 exec_lo, exec_lo, s1
	v_and_b32_e32 v48, 3, v40
	s_delay_alu instid0(VALU_DEP_1)
	v_lshlrev_b32_e32 v49, 3, v48
	global_load_b64 v[49:50], v49, s[4:5] offset:16
	global_wb scope:SCOPE_SE
	s_wait_loadcnt_dscnt 0x0
	s_barrier_signal -1
	s_barrier_wait -1
	global_inv scope:SCOPE_SE
	v_mul_f32_e32 v52, v50, v2
	v_dual_mul_f32 v54, v50, v24 :: v_dual_mul_f32 v65, v31, v50
	v_mul_f32_e32 v55, v50, v27
	v_mul_f32_e32 v60, v50, v18
	s_delay_alu instid0(VALU_DEP_4) | instskip(NEXT) | instid1(VALU_DEP_4)
	v_dual_mul_f32 v53, v50, v25 :: v_dual_fmac_f32 v52, v49, v3
	v_fmac_f32_e32 v54, v49, v25
	v_mul_f32_e32 v58, v50, v16
	v_mul_f32_e32 v56, v50, v26
	v_mul_f32_e32 v59, v50, v19
	v_dual_mul_f32 v61, v50, v21 :: v_dual_fmac_f32 v60, v49, v19
	v_mul_f32_e32 v64, v50, v22
	v_dual_sub_f32 v19, v7, v54 :: v_dual_fmac_f32 v58, v49, v17
	v_mul_f32_e32 v62, v50, v20
	v_mul_f32_e32 v51, v50, v3
	;; [unrolled: 1-line block ×4, first 2 shown]
	v_fma_f32 v3, v49, v24, -v53
	v_fma_f32 v24, v49, v26, -v55
	;; [unrolled: 1-line block ×3, first 2 shown]
	v_fmac_f32_e32 v64, v49, v23
	v_sub_f32_e32 v17, v5, v52
	v_fmac_f32_e32 v56, v49, v27
	v_fma_f32 v27, v49, v20, -v61
	v_dual_sub_f32 v23, v15, v58 :: v_dual_fmac_f32 v62, v49, v21
	v_fma_f32 v2, v49, v2, -v51
	v_sub_f32_e32 v20, v12, v24
	v_sub_f32_e32 v24, v8, v26
	s_delay_alu instid0(VALU_DEP_4)
	v_dual_sub_f32 v26, v10, v27 :: v_dual_sub_f32 v27, v11, v62
	v_mul_f32_e32 v50, v30, v50
	v_fma_f32 v25, v49, v16, -v57
	v_and_or_b32 v45, 0x78, v45, v48
	v_fma_f32 v51, v49, v22, -v63
	v_fma_f32 v53, v30, v49, -v65
	v_dual_fmac_f32 v50, v31, v49 :: v_dual_sub_f32 v31, v1, v64
	v_sub_f32_e32 v16, v4, v2
	v_and_or_b32 v44, 0xf8, v44, v48
	s_delay_alu instid0(VALU_DEP_3)
	v_dual_sub_f32 v18, v6, v3 :: v_dual_sub_f32 v3, v29, v50
	v_and_or_b32 v39, 0x1f8, v39, v48
	v_sub_f32_e32 v21, v13, v56
	v_and_or_b32 v38, 0x1f8, v38, v48
	v_sub_f32_e32 v22, v14, v25
	;; [unrolled: 2-line block ×3, first 2 shown]
	v_and_or_b32 v36, 0x2f8, v36, v48
	v_and_or_b32 v35, 0x3f8, v35, v48
	v_lshl_add_u32 v45, v45, 3, 0
	v_sub_f32_e32 v30, v0, v51
	v_sub_f32_e32 v2, v28, v53
	v_fma_f32 v4, v4, 2.0, -v16
	v_fma_f32 v5, v5, 2.0, -v17
	v_lshl_add_u32 v44, v44, 3, 0
	v_fma_f32 v6, v6, 2.0, -v18
	v_fma_f32 v7, v7, 2.0, -v19
	v_lshl_add_u32 v39, v39, 3, 0
	;; [unrolled: 3-line block ×5, first 2 shown]
	v_lshl_add_u32 v35, v35, 3, 0
	v_fma_f32 v10, v10, 2.0, -v26
	v_fma_f32 v11, v11, 2.0, -v27
	;; [unrolled: 1-line block ×4, first 2 shown]
	ds_store_2addr_b64 v45, v[4:5], v[16:17] offset1:4
	ds_store_2addr_b64 v44, v[6:7], v[18:19] offset1:4
	;; [unrolled: 1-line block ×7, first 2 shown]
	s_and_saveexec_b32 s1, s0
	s_cbranch_execz .LBB0_29
; %bb.28:
	v_and_or_b32 v0, 0x378, v47, v48
	v_fma_f32 v1, v29, 2.0, -v3
	s_delay_alu instid0(VALU_DEP_2)
	v_lshl_add_u32 v4, v0, 3, 0
	v_fma_f32 v0, v28, 2.0, -v2
	ds_store_2addr_b64 v4, v[0:1], v[2:3] offset1:4
.LBB0_29:
	s_wait_alu 0xfffe
	s_or_b32 exec_lo, exec_lo, s1
	v_and_b32_e32 v37, 7, v40
	global_wb scope:SCOPE_SE
	s_wait_dscnt 0x0
	s_barrier_signal -1
	s_barrier_wait -1
	global_inv scope:SCOPE_SE
	v_lshlrev_b32_e32 v0, 4, v37
	ds_load_2addr_b64 v[8:11], v46 offset1:56
	v_lshrrev_b32_e32 v45, 3, v34
	v_lshrrev_b32_e32 v50, 3, v33
	;; [unrolled: 1-line block ×3, first 2 shown]
	global_load_b128 v[4:7], v0, s[4:5] offset:48
	v_add_nc_u32_e32 v49, 0x400, v46
	v_add_nc_u32_e32 v47, 0x1000, v46
	;; [unrolled: 1-line block ×3, first 2 shown]
	ds_load_2addr_b64 v[12:15], v46 offset0:112 offset1:168
	ds_load_b64 v[0:1], v46 offset:6272
	ds_load_2addr_b64 v[16:19], v49 offset0:96 offset1:152
	ds_load_2addr_b64 v[20:23], v47 offset0:48 offset1:104
	;; [unrolled: 1-line block ×5, first 2 shown]
	v_and_b32_e32 v51, 0xff, v40
	v_and_b32_e32 v52, 0xff, v32
	v_lshrrev_b32_e32 v39, 3, v32
	v_lshrrev_b32_e32 v44, 3, v41
	v_and_b32_e32 v53, 0xff, v41
	v_mul_u32_u24_e32 v38, 24, v38
	v_mul_u32_u24_e32 v45, 24, v45
	;; [unrolled: 1-line block ×5, first 2 shown]
	global_wb scope:SCOPE_SE
	s_wait_loadcnt_dscnt 0x0
	s_barrier_signal -1
	s_barrier_wait -1
	global_inv scope:SCOPE_SE
	v_cmp_gt_u32_e64 s0, 8, v40
	v_mul_f32_e32 v64, v5, v27
	v_mul_f32_e32 v62, v7, v23
	v_mul_lo_u16 v51, 0xab, v51
	v_mul_f32_e32 v63, v7, v22
	v_mul_lo_u16 v52, 0xab, v52
	v_mul_lo_u16 v53, 0xab, v53
	v_mul_f32_e32 v56, v5, v19
	v_lshrrev_b16 v51, 12, v51
	v_or_b32_e32 v38, v38, v37
	v_lshrrev_b16 v52, 12, v52
	v_or_b32_e32 v39, v39, v37
	v_or_b32_e32 v44, v44, v37
	v_mul_lo_u16 v54, v51, 24
	v_or_b32_e32 v45, v45, v37
	v_or_b32_e32 v37, v50, v37
	v_lshrrev_b16 v50, 12, v53
	v_mul_lo_u16 v53, v52, 24
	v_sub_nc_u16 v54, v40, v54
	v_dual_mul_f32 v57, v5, v18 :: v_dual_mul_f32 v58, v7, v21
	v_mul_f32_e32 v59, v7, v20
	s_delay_alu instid0(VALU_DEP_4) | instskip(NEXT) | instid1(VALU_DEP_4)
	v_sub_nc_u16 v32, v32, v53
	v_dual_mul_f32 v66, v7, v29 :: v_dual_and_b32 v53, 0xff, v54
	v_mul_f32_e32 v60, v5, v25
	v_mul_f32_e32 v61, v5, v24
	s_delay_alu instid0(VALU_DEP_4) | instskip(NEXT) | instid1(VALU_DEP_4)
	v_dual_mul_f32 v68, v34, v5 :: v_dual_and_b32 v55, 0xff, v32
	v_dual_mul_f32 v65, v5, v26 :: v_dual_lshlrev_b32 v32, 5, v53
	v_mul_f32_e32 v70, v31, v7
	v_dual_mul_f32 v67, v7, v28 :: v_dual_mul_f32 v72, v36, v5
	v_dual_mul_f32 v69, v33, v5 :: v_dual_mul_f32 v74, v0, v7
	v_mul_f32_e32 v71, v30, v7
	v_fmac_f32_e32 v61, v4, v25
	v_fmac_f32_e32 v63, v6, v23
	;; [unrolled: 1-line block ×3, first 2 shown]
	v_fma_f32 v21, v4, v26, -v64
	v_fmac_f32_e32 v57, v4, v19
	v_fma_f32 v19, v4, v24, -v60
	v_mul_f32_e32 v73, v1, v7
	v_fma_f32 v7, v4, v18, -v56
	v_fma_f32 v18, v6, v20, -v58
	;; [unrolled: 1-line block ×4, first 2 shown]
	v_mul_f32_e32 v5, v35, v5
	v_dual_fmac_f32 v65, v4, v27 :: v_dual_fmac_f32 v74, v1, v6
	v_fma_f32 v23, v33, v4, -v68
	s_delay_alu instid0(VALU_DEP_4)
	v_dual_sub_f32 v60, v21, v22 :: v_dual_fmac_f32 v69, v34, v4
	v_fmac_f32_e32 v71, v31, v6
	v_fmac_f32_e32 v67, v6, v29
	v_fma_f32 v24, v30, v6, -v70
	v_fma_f32 v25, v35, v4, -v72
	v_add_f32_e32 v30, v19, v20
	v_sub_f32_e32 v62, v69, v71
	v_fma_f32 v26, v0, v6, -v73
	v_add_f32_e32 v0, v8, v7
	v_dual_sub_f32 v56, v65, v67 :: v_dual_fmac_f32 v5, v36, v4
	v_add_f32_e32 v64, v15, v69
	v_add_f32_e32 v1, v7, v18
	;; [unrolled: 1-line block ×4, first 2 shown]
	v_dual_add_f32 v70, v17, v5 :: v_dual_sub_f32 v29, v7, v18
	v_dual_add_f32 v7, v10, v19 :: v_dual_add_f32 v68, v25, v26
	v_add_f32_e32 v34, v61, v63
	v_add_f32_e32 v28, v57, v59
	v_dual_sub_f32 v27, v57, v59 :: v_dual_sub_f32 v66, v23, v24
	v_dual_sub_f32 v31, v61, v63 :: v_dual_add_f32 v0, v0, v18
	v_dual_add_f32 v33, v11, v61 :: v_dual_add_f32 v72, v5, v74
	v_fma_f32 v4, -0.5, v1, v8
	v_sub_f32_e32 v35, v19, v20
	v_add_f32_e32 v19, v12, v21
	v_add_f32_e32 v21, v14, v23
	v_fma_f32 v10, -0.5, v30, v10
	v_add_f32_e32 v61, v23, v24
	v_add_f32_e32 v23, v16, v25
	v_fma_f32 v12, -0.5, v36, v12
	v_add_f32_e32 v58, v65, v67
	v_dual_add_f32 v1, v6, v59 :: v_dual_add_f32 v6, v7, v20
	v_dual_add_f32 v57, v13, v65 :: v_dual_add_f32 v8, v19, v22
	v_dual_add_f32 v65, v69, v71 :: v_dual_fmamk_f32 v22, v27, 0x3f5db3d7, v4
	v_sub_f32_e32 v69, v5, v74
	v_fma_f32 v5, -0.5, v28, v9
	v_sub_f32_e32 v73, v25, v26
	v_add_f32_e32 v20, v23, v26
	v_fma_f32 v16, -0.5, v68, v16
	v_fmamk_f32 v26, v56, 0x3f5db3d7, v12
	v_dual_fmac_f32 v12, 0xbf5db3d7, v56 :: v_dual_fmac_f32 v11, -0.5, v34
	v_fma_f32 v13, -0.5, v58, v13
	s_delay_alu instid0(VALU_DEP_4)
	v_fmamk_f32 v30, v69, 0x3f5db3d7, v16
	v_lshl_add_u32 v38, v38, 3, 0
	v_dual_add_f32 v18, v21, v24 :: v_dual_fmac_f32 v15, -0.5, v65
	v_fmac_f32_e32 v17, -0.5, v72
	v_fmamk_f32 v23, v29, 0xbf5db3d7, v5
	v_fmamk_f32 v24, v31, 0x3f5db3d7, v10
	v_fmac_f32_e32 v10, 0xbf5db3d7, v31
	v_fma_f32 v14, -0.5, v61, v14
	v_fmac_f32_e32 v4, 0xbf5db3d7, v27
	v_fmac_f32_e32 v5, 0x3f5db3d7, v29
	v_lshl_add_u32 v39, v39, 3, 0
	s_delay_alu instid0(VALU_DEP_4)
	v_dual_add_f32 v7, v33, v63 :: v_dual_fmamk_f32 v28, v62, 0x3f5db3d7, v14
	v_fmamk_f32 v25, v35, 0xbf5db3d7, v11
	v_fmac_f32_e32 v11, 0x3f5db3d7, v35
	v_lshl_add_u32 v44, v44, 3, 0
	v_dual_add_f32 v9, v57, v67 :: v_dual_fmac_f32 v16, 0xbf5db3d7, v69
	v_fmamk_f32 v27, v60, 0xbf5db3d7, v13
	v_lshl_add_u32 v45, v45, 3, 0
	v_lshl_add_u32 v37, v37, 3, 0
	v_add_f32_e32 v19, v64, v71
	v_add_f32_e32 v21, v70, v74
	v_fmac_f32_e32 v13, 0x3f5db3d7, v60
	v_dual_fmac_f32 v14, 0xbf5db3d7, v62 :: v_dual_fmamk_f32 v29, v66, 0xbf5db3d7, v15
	v_fmac_f32_e32 v15, 0x3f5db3d7, v66
	v_fmamk_f32 v31, v73, 0xbf5db3d7, v17
	v_dual_fmac_f32 v17, 0x3f5db3d7, v73 :: v_dual_lshlrev_b32 v62, 3, v55
	ds_store_2addr_b64 v38, v[0:1], v[22:23] offset1:8
	ds_store_b64 v38, v[4:5] offset:128
	ds_store_2addr_b64 v39, v[6:7], v[24:25] offset1:8
	ds_store_b64 v39, v[10:11] offset:128
	;; [unrolled: 2-line block ×5, first 2 shown]
	global_wb scope:SCOPE_SE
	s_wait_dscnt 0x0
	s_barrier_signal -1
	s_barrier_wait -1
	global_inv scope:SCOPE_SE
	s_clause 0x1
	global_load_b128 v[4:7], v32, s[4:5] offset:176
	global_load_b128 v[8:11], v32, s[4:5] offset:192
	v_mul_lo_u16 v54, v50, 24
	v_lshlrev_b32_e32 v1, 5, v55
	v_and_b32_e32 v28, 0xffff, v52
	s_delay_alu instid0(VALU_DEP_3) | instskip(SKIP_4) | instid1(VALU_DEP_3)
	v_sub_nc_u16 v0, v41, v54
	global_load_b128 v[12:15], v1, s[4:5] offset:176
	v_mul_u32_u24_e32 v45, 0x3c0, v28
	v_and_b32_e32 v32, 0xffff, v50
	v_and_b32_e32 v0, 0xff, v0
	v_add3_u32 v45, 0, v45, v62
	s_delay_alu instid0(VALU_DEP_3) | instskip(NEXT) | instid1(VALU_DEP_3)
	v_mul_u32_u24_e32 v60, 0x3c0, v32
	v_lshlrev_b32_e32 v24, 5, v0
	s_clause 0x2
	global_load_b128 v[16:19], v1, s[4:5] offset:192
	global_load_b128 v[20:23], v24, s[4:5] offset:176
	;; [unrolled: 1-line block ×3, first 2 shown]
	ds_load_2addr_b64 v[28:31], v46 offset0:112 offset1:168
	v_add_nc_u32_e32 v50, 0xc00, v46
	ds_load_2addr_b64 v[32:35], v48 offset0:24 offset1:80
	ds_load_2addr_b64 v[56:59], v48 offset0:136 offset1:192
	s_wait_loadcnt_dscnt 0x502
	v_mul_f32_e32 v69, v5, v31
	ds_load_2addr_b64 v[36:39], v50 offset0:120 offset1:176
	s_wait_dscnt 0x2
	v_dual_mul_f32 v5, v5, v30 :: v_dual_mul_f32 v70, v7, v35
	v_fma_f32 v30, v4, v30, -v69
	s_delay_alu instid0(VALU_DEP_2) | instskip(NEXT) | instid1(VALU_DEP_3)
	v_fmac_f32_e32 v5, v4, v31
	v_fma_f32 v4, v6, v34, -v70
	s_wait_loadcnt_dscnt 0x301
	v_mul_f32_e32 v74, v57, v15
	s_wait_loadcnt_dscnt 0x100
	v_dual_mul_f32 v78, v59, v23 :: v_dual_mul_f32 v71, v9, v37
	v_dual_mul_f32 v72, v9, v36 :: v_dual_mul_f32 v75, v39, v17
	s_delay_alu instid0(VALU_DEP_2)
	v_fma_f32 v31, v8, v36, -v71
	v_lshlrev_b32_e32 v61, 3, v53
	ds_load_2addr_b64 v[52:55], v47 offset0:104 offset1:160
	v_fmac_f32_e32 v72, v8, v37
	v_sub_f32_e32 v36, v4, v31
	s_wait_dscnt 0x0
	v_mul_f32_e32 v9, v11, v55
	v_mul_f32_e32 v73, v11, v54
	s_delay_alu instid0(VALU_DEP_1) | instskip(SKIP_1) | instid1(VALU_DEP_4)
	v_fmac_f32_e32 v73, v10, v55
	v_mul_f32_e32 v7, v7, v34
	v_fma_f32 v34, v10, v54, -v9
	v_and_b32_e32 v1, 0xffff, v51
	v_lshlrev_b32_e32 v63, 3, v0
	v_add_nc_u32_e32 v51, 0x1400, v46
	v_fma_f32 v10, v58, v22, -v78
	s_delay_alu instid0(VALU_DEP_4)
	v_mul_u32_u24_e32 v44, 0x3c0, v1
	ds_load_2addr_b32 v[0:1], v49 offset0:192 offset1:193
	v_add3_u32 v68, 0, v60, v63
	s_wait_dscnt 0x0
	v_mul_f32_e32 v11, v1, v13
	v_mul_f32_e32 v13, v13, v0
	s_delay_alu instid0(VALU_DEP_2) | instskip(NEXT) | instid1(VALU_DEP_2)
	v_fma_f32 v0, v12, v0, -v11
	v_dual_fmac_f32 v13, v1, v12 :: v_dual_sub_f32 v12, v34, v31
	v_add3_u32 v44, 0, v44, v61
	ds_load_2addr_b64 v[60:63], v51 offset0:88 offset1:144
	ds_load_2addr_b64 v[64:67], v46 offset1:56
	v_mul_f32_e32 v17, v38, v17
	v_fma_f32 v1, v56, v14, -v74
	v_mul_f32_e32 v23, v58, v23
	global_wb scope:SCOPE_SE
	s_wait_loadcnt_dscnt 0x0
	s_barrier_signal -1
	s_barrier_wait -1
	v_dual_sub_f32 v58, v0, v1 :: v_dual_fmac_f32 v23, v59, v22
	v_fmac_f32_e32 v17, v39, v16
	global_inv scope:SCOPE_SE
	v_mul_f32_e32 v76, v61, v19
	v_mul_f32_e32 v77, v60, v19
	v_dual_mul_f32 v19, v33, v21 :: v_dual_add_f32 v54, v66, v0
	s_delay_alu instid0(VALU_DEP_2) | instskip(SKIP_1) | instid1(VALU_DEP_3)
	v_fmac_f32_e32 v77, v61, v18
	v_mul_f32_e32 v15, v56, v15
	v_fma_f32 v8, v32, v20, -v19
	v_mul_f32_e32 v79, v53, v25
	v_sub_f32_e32 v61, v1, v0
	v_sub_f32_e32 v74, v77, v17
	v_fmac_f32_e32 v15, v57, v14
	v_fma_f32 v14, v38, v16, -v75
	v_dual_sub_f32 v38, v73, v72 :: v_dual_fmac_f32 v7, v6, v35
	v_fma_f32 v35, v60, v18, -v76
	v_sub_f32_e32 v82, v8, v10
	v_fma_f32 v18, v52, v24, -v79
	v_mul_f32_e32 v6, v63, v27
	v_add_f32_e32 v16, v30, v34
	v_dual_sub_f32 v59, v35, v14 :: v_dual_add_f32 v60, v0, v35
	s_delay_alu instid0(VALU_DEP_4) | instskip(NEXT) | instid1(VALU_DEP_4)
	v_dual_sub_f32 v90, v10, v18 :: v_dual_mul_f32 v21, v32, v21
	v_fma_f32 v32, v62, v26, -v6
	v_add_f32_e32 v6, v64, v30
	v_sub_f32_e32 v70, v0, v35
	v_sub_f32_e32 v0, v13, v15
	v_fmac_f32_e32 v21, v33, v20
	v_mul_f32_e32 v27, v62, v27
	v_sub_f32_e32 v19, v4, v30
	v_sub_f32_e32 v20, v31, v34
	;; [unrolled: 1-line block ×3, first 2 shown]
	v_dual_add_f32 v91, v6, v4 :: v_dual_sub_f32 v92, v21, v23
	v_fma_f32 v6, -0.5, v16, v64
	v_add_f32_e32 v16, v54, v1
	v_sub_f32_e32 v76, v17, v77
	v_dual_add_f32 v22, v65, v5 :: v_dual_fmac_f32 v27, v63, v26
	v_dual_add_f32 v54, v82, v83 :: v_dual_mul_f32 v25, v52, v25
	v_add_f32_e32 v78, v28, v8
	v_add_f32_e32 v9, v4, v31
	;; [unrolled: 1-line block ×6, first 2 shown]
	v_dual_add_f32 v55, v1, v14 :: v_dual_sub_f32 v26, v7, v72
	v_add_f32_e32 v33, v7, v72
	v_dual_sub_f32 v37, v5, v7 :: v_dual_sub_f32 v52, v7, v5
	v_dual_sub_f32 v56, v13, v77 :: v_dual_add_f32 v79, v10, v18
	v_sub_f32_e32 v80, v21, v27
	v_fmac_f32_e32 v25, v53, v24
	v_dual_sub_f32 v24, v5, v73 :: v_dual_sub_f32 v11, v30, v4
	v_sub_f32_e32 v85, v10, v8
	v_sub_f32_e32 v89, v8, v32
	v_fma_f32 v4, -0.5, v9, v64
	v_fma_f32 v8, -0.5, v55, v66
	v_sub_f32_e32 v53, v72, v73
	v_add_f32_e32 v39, v5, v73
	v_fma_f32 v5, -0.5, v33, v65
	v_dual_add_f32 v33, v37, v38 :: v_dual_fmamk_f32 v10, v24, 0x3f737871, v4
	s_delay_alu instid0(VALU_DEP_4)
	v_add_f32_e32 v37, v52, v53
	v_add_f32_e32 v52, v0, v74
	v_fma_f32 v0, -0.5, v79, v28
	v_add_f32_e32 v63, v67, v13
	v_dual_sub_f32 v57, v15, v17 :: v_dual_sub_f32 v62, v14, v35
	v_dual_add_f32 v69, v15, v17 :: v_dual_sub_f32 v86, v18, v32
	v_dual_add_f32 v93, v11, v12 :: v_dual_add_f32 v38, v58, v59
	v_dual_add_f32 v12, v21, v27 :: v_dual_sub_f32 v81, v23, v25
	v_fmac_f32_e32 v10, 0x3f167918, v26
	v_add_f32_e32 v88, v23, v25
	v_fma_f32 v28, -0.5, v84, v28
	v_add_f32_e32 v31, v91, v31
	v_add_f32_e32 v75, v13, v77
	v_sub_f32_e32 v13, v15, v13
	v_add_f32_e32 v15, v63, v15
	v_dual_add_f32 v63, v22, v18 :: v_dual_fmamk_f32 v18, v80, 0x3f737871, v0
	v_dual_fmac_f32 v0, 0xbf737871, v80 :: v_dual_add_f32 v87, v29, v21
	v_fma_f32 v66, -0.5, v60, v66
	v_sub_f32_e32 v30, v30, v34
	s_delay_alu instid0(VALU_DEP_4) | instskip(NEXT) | instid1(VALU_DEP_4)
	v_fmac_f32_e32 v18, 0x3f167918, v81
	v_dual_fmac_f32 v0, 0xbf167918, v81 :: v_dual_sub_f32 v71, v1, v14
	v_fma_f32 v1, -0.5, v88, v29
	v_dual_fmac_f32 v29, -0.5, v12 :: v_dual_fmamk_f32 v12, v26, 0xbf737871, v6
	v_fmac_f32_e32 v6, 0x3f737871, v26
	v_fma_f32 v7, -0.5, v39, v65
	v_add_f32_e32 v39, v61, v62
	v_add_f32_e32 v61, v16, v14
	v_fmamk_f32 v14, v56, 0x3f737871, v8
	v_fmac_f32_e32 v8, 0xbf737871, v56
	v_dual_fmamk_f32 v16, v57, 0xbf737871, v66 :: v_dual_sub_f32 v11, v27, v25
	v_fmac_f32_e32 v6, 0xbf167918, v24
	v_fma_f32 v9, -0.5, v69, v67
	s_delay_alu instid0(VALU_DEP_4) | instskip(NEXT) | instid1(VALU_DEP_4)
	v_fmac_f32_e32 v8, 0xbf167918, v57
	v_dual_sub_f32 v19, v23, v21 :: v_dual_fmac_f32 v16, 0x3f167918, v56
	v_add_f32_e32 v60, v20, v72
	v_dual_fmac_f32 v66, 0x3f737871, v57 :: v_dual_sub_f32 v21, v25, v27
	v_fmamk_f32 v20, v81, 0xbf737871, v28
	v_fmac_f32_e32 v28, 0x3f737871, v81
	v_fmac_f32_e32 v8, 0x3e9e377a, v38
	s_delay_alu instid0(VALU_DEP_4) | instskip(SKIP_1) | instid1(VALU_DEP_4)
	v_fmac_f32_e32 v66, 0xbf167918, v56
	v_dual_add_f32 v22, v31, v34 :: v_dual_fmac_f32 v67, -0.5, v75
	v_fmac_f32_e32 v28, 0xbf167918, v80
	v_add_f32_e32 v58, v92, v11
	v_dual_fmac_f32 v4, 0xbf737871, v24 :: v_dual_fmamk_f32 v11, v30, 0xbf737871, v5
	v_dual_add_f32 v53, v13, v76 :: v_dual_fmac_f32 v10, 0x3e9e377a, v93
	v_fmamk_f32 v13, v36, 0x3f737871, v7
	v_fmac_f32_e32 v7, 0xbf737871, v36
	v_dual_fmac_f32 v5, 0x3f737871, v30 :: v_dual_add_f32 v62, v15, v17
	v_fmamk_f32 v15, v70, 0xbf737871, v9
	v_fmamk_f32 v17, v71, 0x3f737871, v67
	v_fmac_f32_e32 v67, 0xbf737871, v71
	v_dual_fmac_f32 v12, 0x3f167918, v24 :: v_dual_add_f32 v23, v87, v23
	v_fmac_f32_e32 v14, 0x3f167918, v57
	v_dual_add_f32 v59, v19, v21 :: v_dual_fmac_f32 v6, 0x3e9e377a, v94
	v_fmamk_f32 v21, v90, 0x3f737871, v29
	v_fmac_f32_e32 v29, 0xbf737871, v90
	s_delay_alu instid0(VALU_DEP_4)
	v_fmac_f32_e32 v14, 0x3e9e377a, v38
	v_fmac_f32_e32 v16, 0x3e9e377a, v39
	v_add_f32_e32 v24, v61, v35
	v_fmamk_f32 v19, v89, 0xbf737871, v1
	v_fmac_f32_e32 v9, 0x3f737871, v70
	v_fmac_f32_e32 v1, 0x3f737871, v89
	v_dual_fmac_f32 v4, 0xbf167918, v26 :: v_dual_fmac_f32 v11, 0xbf167918, v36
	v_fmac_f32_e32 v13, 0xbf167918, v30
	v_fmac_f32_e32 v7, 0x3f167918, v30
	;; [unrolled: 1-line block ×4, first 2 shown]
	v_dual_add_f32 v55, v85, v86 :: v_dual_fmac_f32 v4, 0x3e9e377a, v93
	v_fmac_f32_e32 v17, 0xbf167918, v70
	v_dual_fmac_f32 v67, 0x3f167918, v70 :: v_dual_fmac_f32 v20, 0x3f167918, v80
	v_fmac_f32_e32 v19, 0xbf167918, v90
	v_fmac_f32_e32 v21, 0xbf167918, v89
	;; [unrolled: 1-line block ×4, first 2 shown]
	v_add_f32_e32 v64, v23, v25
	v_dual_add_f32 v23, v60, v73 :: v_dual_fmac_f32 v18, 0x3e9e377a, v54
	v_fmac_f32_e32 v9, 0x3f167918, v71
	v_fmac_f32_e32 v1, 0x3f167918, v90
	;; [unrolled: 1-line block ×3, first 2 shown]
	v_dual_add_f32 v26, v63, v32 :: v_dual_fmac_f32 v11, 0x3e9e377a, v33
	v_dual_fmac_f32 v20, 0x3e9e377a, v55 :: v_dual_fmac_f32 v13, 0x3e9e377a, v37
	v_fmac_f32_e32 v7, 0x3e9e377a, v37
	v_dual_fmac_f32 v5, 0x3e9e377a, v33 :: v_dual_fmac_f32 v28, 0x3e9e377a, v55
	v_dual_add_f32 v25, v62, v77 :: v_dual_fmac_f32 v0, 0x3e9e377a, v54
	v_fmac_f32_e32 v15, 0x3e9e377a, v52
	v_add_f32_e32 v27, v64, v27
	v_fmac_f32_e32 v17, 0x3e9e377a, v53
	v_fmac_f32_e32 v67, 0x3e9e377a, v53
	;; [unrolled: 1-line block ×7, first 2 shown]
	ds_store_2addr_b64 v44, v[22:23], v[10:11] offset1:24
	ds_store_2addr_b64 v44, v[12:13], v[6:7] offset0:48 offset1:72
	ds_store_b64 v44, v[4:5] offset:768
	ds_store_2addr_b64 v45, v[24:25], v[14:15] offset1:24
	ds_store_2addr_b64 v45, v[16:17], v[66:67] offset0:48 offset1:72
	ds_store_b64 v45, v[8:9] offset:768
	;; [unrolled: 3-line block ×3, first 2 shown]
	global_wb scope:SCOPE_SE
	s_wait_dscnt 0x0
	s_barrier_signal -1
	s_barrier_wait -1
	global_inv scope:SCOPE_SE
	ds_load_2addr_b64 v[12:15], v46 offset1:56
	ds_load_2addr_b64 v[16:19], v46 offset0:120 offset1:176
	ds_load_2addr_b64 v[20:23], v49 offset0:112 offset1:168
	;; [unrolled: 1-line block ×6, first 2 shown]
                                        ; implicit-def: $vgpr5
                                        ; implicit-def: $vgpr9
                                        ; implicit-def: $vgpr45
	s_and_saveexec_b32 s1, s0
	s_cbranch_execz .LBB0_31
; %bb.30:
	ds_load_2addr_b64 v[0:3], v46 offset0:112 offset1:232
	ds_load_2addr_b64 v[4:7], v48 offset0:96 offset1:216
	ds_load_2addr_b64 v[8:11], v47 offset0:80 offset1:200
	ds_load_b64 v[44:45], v46 offset:6656
.LBB0_31:
	s_wait_alu 0xfffe
	s_or_b32 exec_lo, exec_lo, s1
	v_mul_u32_u24_e32 v52, 6, v40
	s_delay_alu instid0(VALU_DEP_1)
	v_lshlrev_b32_e32 v72, 3, v52
	s_clause 0x5
	global_load_b128 v[52:55], v72, s[4:5] offset:944
	global_load_b128 v[56:59], v72, s[4:5] offset:960
	;; [unrolled: 1-line block ×6, first 2 shown]
	global_wb scope:SCOPE_SE
	s_wait_loadcnt_dscnt 0x0
	s_barrier_signal -1
	s_barrier_wait -1
	global_inv scope:SCOPE_SE
	v_mul_f32_e32 v77, v55, v21
	v_dual_mul_f32 v76, v53, v17 :: v_dual_mul_f32 v55, v55, v20
	v_dual_mul_f32 v53, v53, v16 :: v_dual_mul_f32 v84, v27, v69
	v_mul_f32_e32 v78, v57, v25
	v_dual_mul_f32 v79, v59, v29 :: v_dual_mul_f32 v82, v65, v19
	v_mul_f32_e32 v80, v61, v33
	;; [unrolled: 2-line block ×3, first 2 shown]
	v_mul_f32_e32 v85, v31, v71
	v_fmac_f32_e32 v53, v52, v17
	v_fma_f32 v17, v54, v20, -v77
	v_mul_f32_e32 v81, v63, v37
	v_mul_f32_e32 v63, v63, v36
	v_fmac_f32_e32 v55, v54, v21
	v_fma_f32 v20, v56, v24, -v78
	v_fma_f32 v21, v58, v28, -v79
	v_mul_f32_e32 v83, v67, v23
	v_mul_f32_e32 v67, v67, v22
	v_fma_f32 v24, v60, v32, -v80
	v_mul_f32_e32 v71, v30, v71
	v_fma_f32 v16, v52, v16, -v76
	v_fmac_f32_e32 v57, v56, v25
	v_fmac_f32_e32 v67, v66, v23
	v_fma_f32 v23, v30, v70, -v85
	v_add_f32_e32 v30, v17, v24
	v_fma_f32 v25, v62, v36, -v81
	v_mul_f32_e32 v65, v65, v18
	v_dual_mul_f32 v61, v61, v32 :: v_dual_add_f32 v32, v20, v21
	v_fma_f32 v18, v64, v18, -v82
	s_delay_alu instid0(VALU_DEP_4)
	v_dual_add_f32 v28, v16, v25 :: v_dual_mul_f32 v87, v39, v75
	v_sub_f32_e32 v16, v16, v25
	v_fmac_f32_e32 v65, v64, v19
	v_fma_f32 v19, v66, v22, -v83
	v_mul_f32_e32 v69, v26, v69
	v_fma_f32 v22, v26, v68, -v84
	v_fma_f32 v26, v34, v72, -v86
	v_dual_mul_f32 v73, v34, v73 :: v_dual_sub_f32 v20, v21, v20
	v_dual_sub_f32 v54, v30, v28 :: v_dual_fmac_f32 v61, v60, v33
	s_delay_alu instid0(VALU_DEP_3)
	v_add_f32_e32 v36, v19, v26
	v_sub_f32_e32 v19, v19, v26
	v_sub_f32_e32 v17, v17, v24
	v_fmac_f32_e32 v69, v27, v68
	v_fma_f32 v27, v38, v74, -v87
	v_fmac_f32_e32 v59, v58, v29
	v_fmac_f32_e32 v63, v62, v37
	v_dual_add_f32 v56, v20, v17 :: v_dual_mul_f32 v75, v38, v75
	s_delay_alu instid0(VALU_DEP_4) | instskip(SKIP_3) | instid1(VALU_DEP_4)
	v_add_f32_e32 v34, v18, v27
	v_add_f32_e32 v38, v22, v23
	v_sub_f32_e32 v22, v23, v22
	v_dual_fmac_f32 v73, v35, v72 :: v_dual_sub_f32 v18, v18, v27
	v_add_f32_e32 v60, v36, v34
	v_add_f32_e32 v52, v30, v28
	s_delay_alu instid0(VALU_DEP_4) | instskip(NEXT) | instid1(VALU_DEP_4)
	v_add_f32_e32 v64, v22, v19
	v_sub_f32_e32 v26, v67, v73
	v_dual_fmac_f32 v75, v39, v74 :: v_dual_sub_f32 v58, v20, v17
	v_sub_f32_e32 v17, v17, v16
	v_sub_f32_e32 v28, v28, v32
	;; [unrolled: 1-line block ×4, first 2 shown]
	v_dual_sub_f32 v20, v16, v20 :: v_dual_add_f32 v29, v53, v63
	v_dual_sub_f32 v62, v36, v34 :: v_dual_sub_f32 v25, v53, v63
	v_sub_f32_e32 v34, v34, v38
	v_dual_sub_f32 v36, v38, v36 :: v_dual_add_f32 v35, v65, v75
	v_add_f32_e32 v16, v56, v16
	v_mul_f32_e32 v56, 0xbf08b237, v58
	v_mul_f32_e32 v58, 0x3f5ff5aa, v17
	v_dual_sub_f32 v21, v59, v57 :: v_dual_sub_f32 v66, v22, v19
	v_sub_f32_e32 v22, v18, v22
	v_fmac_f32_e32 v71, v31, v70
	v_dual_add_f32 v33, v57, v59 :: v_dual_add_f32 v32, v32, v52
	v_dual_sub_f32 v27, v65, v75 :: v_dual_mul_f32 v28, 0x3f4a47b2, v28
	v_add_f32_e32 v31, v55, v61
	v_dual_add_f32 v37, v67, v73 :: v_dual_mul_f32 v52, 0x3d64c772, v30
	s_delay_alu instid0(VALU_DEP_3)
	v_dual_sub_f32 v59, v21, v24 :: v_dual_fmamk_f32 v30, v30, 0x3d64c772, v28
	v_sub_f32_e32 v19, v19, v18
	v_dual_add_f32 v57, v21, v24 :: v_dual_sub_f32 v24, v24, v25
	v_dual_sub_f32 v23, v71, v69 :: v_dual_add_f32 v18, v64, v18
	v_dual_sub_f32 v21, v25, v21 :: v_dual_mul_f32 v34, 0x3f4a47b2, v34
	v_fma_f32 v52, 0x3f3bfb3b, v54, -v52
	s_delay_alu instid0(VALU_DEP_3)
	v_sub_f32_e32 v67, v23, v26
	v_fma_f32 v28, 0xbf3bfb3b, v54, -v28
	v_fmamk_f32 v54, v20, 0x3eae86e6, v56
	v_fma_f32 v56, 0x3f5ff5aa, v17, -v56
	v_dual_add_f32 v65, v23, v26 :: v_dual_sub_f32 v26, v26, v27
	v_add_f32_e32 v53, v31, v29
	v_sub_f32_e32 v55, v31, v29
	v_dual_sub_f32 v29, v29, v33 :: v_dual_mul_f32 v64, 0xbf08b237, v66
	v_dual_sub_f32 v31, v33, v31 :: v_dual_add_f32 v12, v32, v12
	v_dual_add_f32 v39, v69, v71 :: v_dual_add_f32 v38, v38, v60
	v_add_f32_e32 v33, v33, v53
	s_delay_alu instid0(VALU_DEP_4) | instskip(NEXT) | instid1(VALU_DEP_4)
	v_mul_f32_e32 v29, 0x3f4a47b2, v29
	v_mul_f32_e32 v53, 0x3d64c772, v31
	v_dual_mul_f32 v66, 0x3f5ff5aa, v19 :: v_dual_add_f32 v25, v57, v25
	v_fmamk_f32 v17, v36, 0x3d64c772, v34
	v_mul_f32_e32 v57, 0xbf08b237, v59
	v_dual_add_f32 v61, v37, v35 :: v_dual_add_f32 v14, v38, v14
	v_mul_f32_e32 v59, 0x3f5ff5aa, v24
	v_dual_mul_f32 v60, 0x3d64c772, v36 :: v_dual_fmamk_f32 v31, v31, 0x3d64c772, v29
	v_fma_f32 v53, 0x3f3bfb3b, v55, -v53
	v_fma_f32 v29, 0xbf3bfb3b, v55, -v29
	v_fmamk_f32 v55, v21, 0x3eae86e6, v57
	v_fma_f32 v24, 0x3f5ff5aa, v24, -v57
	v_fma_f32 v57, 0xbeae86e6, v20, -v58
	v_dual_sub_f32 v63, v37, v35 :: v_dual_fmamk_f32 v58, v22, 0x3eae86e6, v64
	v_dual_sub_f32 v37, v39, v37 :: v_dual_fmac_f32 v54, 0x3ee1c552, v16
	v_fma_f32 v36, 0x3f3bfb3b, v62, -v60
	v_fma_f32 v34, 0xbf3bfb3b, v62, -v34
	;; [unrolled: 1-line block ×3, first 2 shown]
	v_fmac_f32_e32 v56, 0x3ee1c552, v16
	v_fmac_f32_e32 v57, 0x3ee1c552, v16
	v_fmamk_f32 v16, v38, 0xbf955555, v14
	v_fma_f32 v60, 0x3f5ff5aa, v19, -v64
	v_fmamk_f32 v19, v32, 0xbf955555, v12
	v_fmac_f32_e32 v58, 0x3ee1c552, v18
	v_fmac_f32_e32 v62, 0x3ee1c552, v18
	v_add_f32_e32 v32, v34, v16
	v_fmac_f32_e32 v60, 0x3ee1c552, v18
	v_fmac_f32_e32 v24, 0x3ee1c552, v25
	v_add_f32_e32 v13, v33, v13
	v_sub_f32_e32 v35, v35, v39
	v_dual_add_f32 v39, v39, v61 :: v_dual_add_f32 v18, v52, v19
	v_fma_f32 v20, 0xbeae86e6, v21, -v59
	v_sub_f32_e32 v23, v27, v23
	v_add_f32_e32 v27, v65, v27
	v_fmamk_f32 v22, v33, 0xbf955555, v13
	v_mul_f32_e32 v35, 0x3f4a47b2, v35
	v_fmac_f32_e32 v55, 0x3ee1c552, v25
	v_dual_fmac_f32 v20, 0x3ee1c552, v25 :: v_dual_add_f32 v25, v30, v19
	v_dual_mul_f32 v65, 0xbf08b237, v67 :: v_dual_add_f32 v30, v36, v16
	v_add_f32_e32 v15, v39, v15
	v_dual_mul_f32 v61, 0x3d64c772, v37 :: v_dual_add_f32 v28, v28, v19
	v_add_f32_e32 v38, v17, v16
	v_sub_f32_e32 v16, v18, v24
	ds_store_2addr_b64 v46, v[12:13], v[14:15] offset1:56
	v_add_f32_e32 v12, v55, v25
	v_fmamk_f32 v59, v23, 0x3eae86e6, v65
	v_dual_mul_f32 v67, 0x3f5ff5aa, v26 :: v_dual_add_f32 v14, v20, v28
	v_sub_f32_e32 v20, v28, v20
	s_delay_alu instid0(VALU_DEP_3)
	v_dual_add_f32 v18, v24, v18 :: v_dual_fmac_f32 v59, 0x3ee1c552, v27
	v_fmamk_f32 v21, v37, 0x3d64c772, v35
	v_fma_f32 v37, 0x3f3bfb3b, v63, -v61
	v_fma_f32 v61, 0x3f5ff5aa, v26, -v65
	;; [unrolled: 1-line block ×3, first 2 shown]
	v_add_f32_e32 v24, v59, v38
	v_fma_f32 v63, 0xbeae86e6, v23, -v67
	s_delay_alu instid0(VALU_DEP_4) | instskip(SKIP_1) | instid1(VALU_DEP_3)
	v_dual_add_f32 v26, v31, v22 :: v_dual_fmac_f32 v61, 0x3ee1c552, v27
	v_sub_f32_e32 v34, v38, v59
	v_fmac_f32_e32 v63, 0x3ee1c552, v27
	s_delay_alu instid0(VALU_DEP_3) | instskip(SKIP_2) | instid1(VALU_DEP_3)
	v_dual_add_f32 v27, v53, v22 :: v_dual_sub_f32 v28, v30, v61
	v_dual_fmamk_f32 v23, v39, 0xbf955555, v15 :: v_dual_add_f32 v22, v29, v22
	v_sub_f32_e32 v13, v26, v54
	v_add_f32_e32 v17, v56, v27
	v_sub_f32_e32 v19, v27, v56
	s_delay_alu instid0(VALU_DEP_4)
	v_add_f32_e32 v39, v21, v23
	v_add_f32_e32 v33, v35, v23
	;; [unrolled: 1-line block ×3, first 2 shown]
	v_sub_f32_e32 v15, v22, v57
	v_add_f32_e32 v21, v57, v22
	v_dual_add_f32 v23, v54, v26 :: v_dual_add_f32 v26, v63, v32
	v_sub_f32_e32 v32, v32, v63
	v_dual_sub_f32 v22, v25, v55 :: v_dual_sub_f32 v25, v39, v58
	v_sub_f32_e32 v27, v33, v62
	v_dual_add_f32 v29, v60, v31 :: v_dual_add_f32 v30, v61, v30
	v_sub_f32_e32 v31, v31, v60
	v_add_f32_e32 v33, v62, v33
	v_add_f32_e32 v35, v58, v39
	ds_store_2addr_b64 v46, v[12:13], v[24:25] offset0:120 offset1:176
	ds_store_2addr_b64 v49, v[14:15], v[26:27] offset0:112 offset1:168
	;; [unrolled: 1-line block ×6, first 2 shown]
	s_and_saveexec_b32 s1, s0
	s_cbranch_execz .LBB0_33
; %bb.32:
	v_dual_mov_b32 v13, 0 :: v_dual_add_nc_u32 v12, -8, v40
	s_delay_alu instid0(VALU_DEP_1) | instskip(NEXT) | instid1(VALU_DEP_1)
	v_cndmask_b32_e64 v12, v12, v41, s0
	v_mul_i32_i24_e32 v12, 6, v12
	s_delay_alu instid0(VALU_DEP_1) | instskip(NEXT) | instid1(VALU_DEP_1)
	v_lshlrev_b64_e32 v[12:13], 3, v[12:13]
	v_add_co_u32 v20, s0, s4, v12
	s_wait_alu 0xf1ff
	s_delay_alu instid0(VALU_DEP_2)
	v_add_co_ci_u32_e64 v21, s0, s5, v13, s0
	s_clause 0x2
	global_load_b128 v[12:15], v[20:21], off offset:944
	global_load_b128 v[16:19], v[20:21], off offset:976
	;; [unrolled: 1-line block ×3, first 2 shown]
	v_add_nc_u32_e32 v24, 0x800, v46
	s_wait_loadcnt 0x2
	v_dual_mul_f32 v26, v3, v13 :: v_dual_add_nc_u32 v25, 0x1000, v46
	s_wait_loadcnt 0x1
	v_mul_f32_e32 v27, v45, v19
	s_wait_loadcnt 0x0
	v_dual_mul_f32 v28, v9, v23 :: v_dual_mul_f32 v29, v7, v21
	v_dual_mul_f32 v30, v5, v15 :: v_dual_mul_f32 v31, v11, v17
	v_mul_f32_e32 v21, v6, v21
	v_mul_f32_e32 v17, v10, v17
	s_delay_alu instid0(VALU_DEP_4)
	v_fma_f32 v6, v6, v20, -v29
	v_mul_f32_e32 v15, v4, v15
	v_fma_f32 v4, v4, v14, -v30
	v_fma_f32 v10, v10, v16, -v31
	v_mul_f32_e32 v13, v2, v13
	v_fma_f32 v2, v2, v12, -v26
	;; [unrolled: 3-line block ×3, first 2 shown]
	v_fmac_f32_e32 v21, v7, v20
	v_sub_f32_e32 v7, v4, v10
	v_add_f32_e32 v4, v4, v10
	v_fmac_f32_e32 v15, v5, v14
	v_dual_sub_f32 v5, v8, v6 :: v_dual_add_f32 v6, v6, v8
	v_fmac_f32_e32 v13, v3, v12
	v_fmac_f32_e32 v17, v11, v16
	v_sub_f32_e32 v3, v2, v26
	v_add_f32_e32 v2, v2, v26
	v_dual_sub_f32 v20, v6, v4 :: v_dual_mul_f32 v19, v44, v19
	s_delay_alu instid0(VALU_DEP_4) | instskip(NEXT) | instid1(VALU_DEP_2)
	v_dual_add_f32 v12, v15, v17 :: v_dual_fmac_f32 v23, v9, v22
	v_dual_sub_f32 v14, v3, v5 :: v_dual_fmac_f32 v19, v45, v18
	s_delay_alu instid0(VALU_DEP_1) | instskip(NEXT) | instid1(VALU_DEP_1)
	v_dual_sub_f32 v10, v23, v21 :: v_dual_add_f32 v9, v13, v19
	v_add_f32_e32 v18, v12, v9
	v_dual_sub_f32 v8, v13, v19 :: v_dual_sub_f32 v13, v15, v17
	v_sub_f32_e32 v19, v2, v6
	s_delay_alu instid0(VALU_DEP_2) | instskip(SKIP_2) | instid1(VALU_DEP_2)
	v_dual_sub_f32 v22, v8, v10 :: v_dual_add_f32 v11, v21, v23
	v_add_f32_e32 v21, v4, v2
	v_sub_f32_e32 v2, v4, v2
	v_add_f32_e32 v6, v6, v21
	s_delay_alu instid0(VALU_DEP_4) | instskip(SKIP_2) | instid1(VALU_DEP_4)
	v_dual_sub_f32 v23, v10, v13 :: v_dual_sub_f32 v16, v9, v11
	v_sub_f32_e32 v17, v11, v12
	v_add_f32_e32 v11, v11, v18
	v_add_f32_e32 v0, v0, v6
	s_delay_alu instid0(VALU_DEP_4) | instskip(SKIP_2) | instid1(VALU_DEP_3)
	v_mul_f32_e32 v18, 0xbf08b237, v23
	v_dual_add_f32 v10, v10, v13 :: v_dual_sub_f32 v15, v5, v7
	v_dual_sub_f32 v4, v13, v8 :: v_dual_sub_f32 v9, v12, v9
	v_fmamk_f32 v23, v22, 0x3eae86e6, v18
	s_delay_alu instid0(VALU_DEP_3) | instskip(NEXT) | instid1(VALU_DEP_4)
	v_add_f32_e32 v8, v10, v8
	v_mul_f32_e32 v12, 0xbf08b237, v15
	s_delay_alu instid0(VALU_DEP_4) | instskip(SKIP_3) | instid1(VALU_DEP_4)
	v_fma_f32 v18, 0x3f5ff5aa, v4, -v18
	v_fmamk_f32 v6, v6, 0xbf955555, v0
	v_mul_f32_e32 v15, 0x3f4a47b2, v19
	v_add_f32_e32 v5, v5, v7
	v_dual_sub_f32 v7, v7, v3 :: v_dual_fmac_f32 v18, 0x3ee1c552, v8
	v_fmac_f32_e32 v23, 0x3ee1c552, v8
	v_fmamk_f32 v21, v14, 0x3eae86e6, v12
	s_delay_alu instid0(VALU_DEP_4) | instskip(NEXT) | instid1(VALU_DEP_4)
	v_add_f32_e32 v3, v5, v3
	v_mul_f32_e32 v10, 0x3f5ff5aa, v7
	v_fma_f32 v12, 0x3f5ff5aa, v7, -v12
	s_delay_alu instid0(VALU_DEP_2) | instskip(SKIP_3) | instid1(VALU_DEP_3)
	v_fma_f32 v10, 0xbeae86e6, v14, -v10
	v_fma_f32 v14, 0xbf3bfb3b, v2, -v15
	v_mul_f32_e32 v5, 0x3f4a47b2, v16
	v_mul_f32_e32 v16, 0x3d64c772, v20
	v_dual_add_f32 v14, v14, v6 :: v_dual_mul_f32 v19, 0x3f5ff5aa, v4
	s_delay_alu instid0(VALU_DEP_2) | instskip(NEXT) | instid1(VALU_DEP_1)
	v_fma_f32 v2, 0x3f3bfb3b, v2, -v16
	v_add_f32_e32 v2, v2, v6
	v_fmamk_f32 v20, v20, 0x3d64c772, v15
	s_delay_alu instid0(VALU_DEP_4) | instskip(NEXT) | instid1(VALU_DEP_1)
	v_fma_f32 v15, 0xbeae86e6, v22, -v19
	v_dual_add_f32 v16, v20, v6 :: v_dual_fmac_f32 v15, 0x3ee1c552, v8
	v_fmac_f32_e32 v12, 0x3ee1c552, v3
	v_add_f32_e32 v1, v1, v11
	v_fmac_f32_e32 v10, 0x3ee1c552, v3
	v_add_f32_e32 v6, v18, v2
	s_delay_alu instid0(VALU_DEP_3) | instskip(SKIP_3) | instid1(VALU_DEP_3)
	v_fmamk_f32 v4, v11, 0xbf955555, v1
	v_mul_f32_e32 v13, 0x3d64c772, v17
	v_fmamk_f32 v17, v17, 0x3d64c772, v5
	v_fma_f32 v5, 0xbf3bfb3b, v9, -v5
	v_fma_f32 v9, 0x3f3bfb3b, v9, -v13
	s_delay_alu instid0(VALU_DEP_2) | instskip(NEXT) | instid1(VALU_DEP_1)
	v_add_f32_e32 v11, v5, v4
	v_dual_add_f32 v8, v9, v4 :: v_dual_add_f32 v5, v10, v11
	v_sub_f32_e32 v11, v11, v10
	s_delay_alu instid0(VALU_DEP_2)
	v_sub_f32_e32 v7, v8, v12
	v_dual_add_f32 v9, v12, v8 :: v_dual_sub_f32 v8, v2, v18
	v_add_f32_e32 v13, v17, v4
	v_dual_add_f32 v12, v23, v16 :: v_dual_fmac_f32 v21, 0x3ee1c552, v3
	v_sub_f32_e32 v2, v16, v23
	v_add_f32_e32 v10, v15, v14
	s_delay_alu instid0(VALU_DEP_3)
	v_dual_sub_f32 v4, v14, v15 :: v_dual_add_f32 v3, v21, v13
	v_sub_f32_e32 v13, v13, v21
	ds_store_2addr_b64 v46, v[0:1], v[12:13] offset0:112 offset1:232
	ds_store_2addr_b64 v24, v[10:11], v[8:9] offset0:96 offset1:216
	;; [unrolled: 1-line block ×3, first 2 shown]
	ds_store_b64 v46, v[2:3] offset:6656
.LBB0_33:
	s_wait_alu 0xfffe
	s_or_b32 exec_lo, exec_lo, s1
	global_wb scope:SCOPE_SE
	s_wait_dscnt 0x0
	s_barrier_signal -1
	s_barrier_wait -1
	global_inv scope:SCOPE_SE
	s_and_saveexec_b32 s0, vcc_lo
	s_cbranch_execz .LBB0_35
; %bb.34:
	v_dual_mov_b32 v41, 0 :: v_dual_add_nc_u32 v6, 56, v40
	v_lshl_add_u32 v24, v40, 3, 0
	v_add_co_u32 v28, vcc_lo, s8, v42
	s_delay_alu instid0(VALU_DEP_3)
	v_lshlrev_b64_e32 v[4:5], 3, v[40:41]
	s_wait_alu 0xfffd
	v_add_co_ci_u32_e32 v29, vcc_lo, s9, v43, vcc_lo
	v_dual_mov_b32 v7, v41 :: v_dual_add_nc_u32 v8, 0x70, v40
	ds_load_2addr_b64 v[0:3], v24 offset1:56
	v_add_co_u32 v10, vcc_lo, v28, v4
	v_dual_mov_b32 v9, v41 :: v_dual_add_nc_u32 v14, 0xa8, v40
	s_wait_alu 0xfffd
	v_add_co_ci_u32_e32 v11, vcc_lo, v29, v5, vcc_lo
	v_lshlrev_b64_e32 v[12:13], 3, v[6:7]
	ds_load_2addr_b64 v[4:7], v24 offset0:112 offset1:168
	v_dual_mov_b32 v15, v41 :: v_dual_add_nc_u32 v16, 0xe0, v40
	v_lshlrev_b64_e32 v[8:9], 3, v[8:9]
	v_dual_mov_b32 v17, v41 :: v_dual_add_nc_u32 v18, 0x400, v24
	v_add_co_u32 v12, vcc_lo, v28, v12
	s_delay_alu instid0(VALU_DEP_4)
	v_lshlrev_b64_e32 v[14:15], 3, v[14:15]
	s_wait_alu 0xfffd
	v_add_co_ci_u32_e32 v13, vcc_lo, v29, v13, vcc_lo
	v_add_co_u32 v8, vcc_lo, v28, v8
	s_wait_alu 0xfffd
	v_add_co_ci_u32_e32 v9, vcc_lo, v29, v9, vcc_lo
	v_add_co_u32 v14, vcc_lo, v28, v14
	s_wait_alu 0xfffd
	v_add_co_ci_u32_e32 v15, vcc_lo, v29, v15, vcc_lo
	s_wait_dscnt 0x1
	s_clause 0x1
	global_store_b64 v[10:11], v[0:1], off
	global_store_b64 v[12:13], v[2:3], off
	s_wait_dscnt 0x0
	s_clause 0x1
	global_store_b64 v[8:9], v[4:5], off
	global_store_b64 v[14:15], v[6:7], off
	v_lshlrev_b64_e32 v[4:5], 3, v[16:17]
	v_dual_mov_b32 v7, v41 :: v_dual_add_nc_u32 v6, 0x118, v40
	v_dual_mov_b32 v15, v41 :: v_dual_add_nc_u32 v20, 0x800, v24
	ds_load_2addr_b64 v[0:3], v18 offset0:96 offset1:152
	v_add_co_u32 v10, vcc_lo, v28, v4
	v_dual_mov_b32 v9, v41 :: v_dual_add_nc_u32 v8, 0x150, v40
	s_wait_alu 0xfffd
	v_add_co_ci_u32_e32 v11, vcc_lo, v29, v5, vcc_lo
	v_lshlrev_b64_e32 v[12:13], 3, v[6:7]
	ds_load_2addr_b64 v[4:7], v20 offset0:80 offset1:136
	v_dual_mov_b32 v19, v41 :: v_dual_add_nc_u32 v14, 0x188, v40
	v_lshlrev_b64_e32 v[8:9], 3, v[8:9]
	v_add_nc_u32_e32 v16, 0x1c0, v40
	v_add_co_u32 v12, vcc_lo, v28, v12
	s_delay_alu instid0(VALU_DEP_4)
	v_lshlrev_b64_e32 v[14:15], 3, v[14:15]
	s_wait_alu 0xfffd
	v_add_co_ci_u32_e32 v13, vcc_lo, v29, v13, vcc_lo
	v_add_co_u32 v8, vcc_lo, v28, v8
	s_wait_alu 0xfffd
	v_add_co_ci_u32_e32 v9, vcc_lo, v29, v9, vcc_lo
	v_add_co_u32 v14, vcc_lo, v28, v14
	s_wait_alu 0xfffd
	v_add_co_ci_u32_e32 v15, vcc_lo, v29, v15, vcc_lo
	v_add_nc_u32_e32 v18, 0x1f8, v40
	s_wait_dscnt 0x1
	s_clause 0x1
	global_store_b64 v[10:11], v[0:1], off
	global_store_b64 v[12:13], v[2:3], off
	s_wait_dscnt 0x0
	s_clause 0x1
	global_store_b64 v[8:9], v[4:5], off
	global_store_b64 v[14:15], v[6:7], off
	v_mov_b32_e32 v11, v41
	v_mov_b32_e32 v9, v41
	v_lshlrev_b64_e32 v[4:5], 3, v[16:17]
	v_add_nc_u32_e32 v8, 0x230, v40
	v_lshlrev_b64_e32 v[6:7], 3, v[18:19]
	v_add_nc_u32_e32 v10, 0x268, v40
	v_add_nc_u32_e32 v25, 0x1000, v24
	ds_load_2addr_b64 v[0:3], v20 offset0:192 offset1:248
	v_add_co_u32 v12, vcc_lo, v28, v4
	v_lshlrev_b64_e32 v[8:9], 3, v[8:9]
	s_wait_alu 0xfffd
	v_add_co_ci_u32_e32 v13, vcc_lo, v29, v5, vcc_lo
	v_add_co_u32 v14, vcc_lo, v28, v6
	s_wait_alu 0xfffd
	v_add_co_ci_u32_e32 v15, vcc_lo, v29, v7, vcc_lo
	v_add_co_u32 v16, vcc_lo, v28, v8
	s_wait_alu 0xfffd
	v_add_co_ci_u32_e32 v17, vcc_lo, v29, v9, vcc_lo
	v_lshlrev_b64_e32 v[8:9], 3, v[10:11]
	v_add_nc_u32_e32 v10, 0x2a0, v40
	ds_load_2addr_b64 v[4:7], v25 offset0:48 offset1:104
	v_add_nc_u32_e32 v18, 0x2d8, v40
	v_add_nc_u32_e32 v40, 0x310, v40
	v_add_co_u32 v20, vcc_lo, v28, v8
	s_wait_alu 0xfffd
	v_add_co_ci_u32_e32 v21, vcc_lo, v29, v9, vcc_lo
	v_lshlrev_b64_e32 v[22:23], 3, v[10:11]
	ds_load_2addr_b64 v[8:11], v25 offset0:160 offset1:216
	ds_load_b64 v[24:25], v24 offset:6272
	v_lshlrev_b64_e32 v[18:19], 3, v[18:19]
	v_lshlrev_b64_e32 v[26:27], 3, v[40:41]
	v_add_co_u32 v22, vcc_lo, v28, v22
	s_wait_alu 0xfffd
	v_add_co_ci_u32_e32 v23, vcc_lo, v29, v23, vcc_lo
	s_delay_alu instid0(VALU_DEP_4)
	v_add_co_u32 v18, vcc_lo, v28, v18
	s_wait_alu 0xfffd
	v_add_co_ci_u32_e32 v19, vcc_lo, v29, v19, vcc_lo
	v_add_co_u32 v26, vcc_lo, v28, v26
	s_wait_alu 0xfffd
	v_add_co_ci_u32_e32 v27, vcc_lo, v29, v27, vcc_lo
	s_wait_dscnt 0x3
	s_clause 0x1
	global_store_b64 v[12:13], v[0:1], off
	global_store_b64 v[14:15], v[2:3], off
	s_wait_dscnt 0x2
	s_clause 0x1
	global_store_b64 v[16:17], v[4:5], off
	global_store_b64 v[20:21], v[6:7], off
	;; [unrolled: 4-line block ×3, first 2 shown]
	s_wait_dscnt 0x0
	global_store_b64 v[26:27], v[24:25], off
.LBB0_35:
	s_nop 0
	s_sendmsg sendmsg(MSG_DEALLOC_VGPRS)
	s_endpgm
	.section	.rodata,"a",@progbits
	.p2align	6, 0x0
	.amdhsa_kernel fft_rtc_fwd_len840_factors_2_2_2_3_5_7_wgs_56_tpt_56_halfLds_sp_ip_CI_unitstride_sbrr_C2R_dirReg
		.amdhsa_group_segment_fixed_size 0
		.amdhsa_private_segment_fixed_size 0
		.amdhsa_kernarg_size 88
		.amdhsa_user_sgpr_count 2
		.amdhsa_user_sgpr_dispatch_ptr 0
		.amdhsa_user_sgpr_queue_ptr 0
		.amdhsa_user_sgpr_kernarg_segment_ptr 1
		.amdhsa_user_sgpr_dispatch_id 0
		.amdhsa_user_sgpr_private_segment_size 0
		.amdhsa_wavefront_size32 1
		.amdhsa_uses_dynamic_stack 0
		.amdhsa_enable_private_segment 0
		.amdhsa_system_sgpr_workgroup_id_x 1
		.amdhsa_system_sgpr_workgroup_id_y 0
		.amdhsa_system_sgpr_workgroup_id_z 0
		.amdhsa_system_sgpr_workgroup_info 0
		.amdhsa_system_vgpr_workitem_id 0
		.amdhsa_next_free_vgpr 95
		.amdhsa_next_free_sgpr 32
		.amdhsa_reserve_vcc 1
		.amdhsa_float_round_mode_32 0
		.amdhsa_float_round_mode_16_64 0
		.amdhsa_float_denorm_mode_32 3
		.amdhsa_float_denorm_mode_16_64 3
		.amdhsa_fp16_overflow 0
		.amdhsa_workgroup_processor_mode 1
		.amdhsa_memory_ordered 1
		.amdhsa_forward_progress 0
		.amdhsa_round_robin_scheduling 0
		.amdhsa_exception_fp_ieee_invalid_op 0
		.amdhsa_exception_fp_denorm_src 0
		.amdhsa_exception_fp_ieee_div_zero 0
		.amdhsa_exception_fp_ieee_overflow 0
		.amdhsa_exception_fp_ieee_underflow 0
		.amdhsa_exception_fp_ieee_inexact 0
		.amdhsa_exception_int_div_zero 0
	.end_amdhsa_kernel
	.text
.Lfunc_end0:
	.size	fft_rtc_fwd_len840_factors_2_2_2_3_5_7_wgs_56_tpt_56_halfLds_sp_ip_CI_unitstride_sbrr_C2R_dirReg, .Lfunc_end0-fft_rtc_fwd_len840_factors_2_2_2_3_5_7_wgs_56_tpt_56_halfLds_sp_ip_CI_unitstride_sbrr_C2R_dirReg
                                        ; -- End function
	.section	.AMDGPU.csdata,"",@progbits
; Kernel info:
; codeLenInByte = 11328
; NumSgprs: 34
; NumVgprs: 95
; ScratchSize: 0
; MemoryBound: 0
; FloatMode: 240
; IeeeMode: 1
; LDSByteSize: 0 bytes/workgroup (compile time only)
; SGPRBlocks: 4
; VGPRBlocks: 11
; NumSGPRsForWavesPerEU: 34
; NumVGPRsForWavesPerEU: 95
; Occupancy: 16
; WaveLimiterHint : 1
; COMPUTE_PGM_RSRC2:SCRATCH_EN: 0
; COMPUTE_PGM_RSRC2:USER_SGPR: 2
; COMPUTE_PGM_RSRC2:TRAP_HANDLER: 0
; COMPUTE_PGM_RSRC2:TGID_X_EN: 1
; COMPUTE_PGM_RSRC2:TGID_Y_EN: 0
; COMPUTE_PGM_RSRC2:TGID_Z_EN: 0
; COMPUTE_PGM_RSRC2:TIDIG_COMP_CNT: 0
	.text
	.p2alignl 7, 3214868480
	.fill 96, 4, 3214868480
	.type	__hip_cuid_5ccbc0ef0a5fea8d,@object ; @__hip_cuid_5ccbc0ef0a5fea8d
	.section	.bss,"aw",@nobits
	.globl	__hip_cuid_5ccbc0ef0a5fea8d
__hip_cuid_5ccbc0ef0a5fea8d:
	.byte	0                               ; 0x0
	.size	__hip_cuid_5ccbc0ef0a5fea8d, 1

	.ident	"AMD clang version 19.0.0git (https://github.com/RadeonOpenCompute/llvm-project roc-6.4.0 25133 c7fe45cf4b819c5991fe208aaa96edf142730f1d)"
	.section	".note.GNU-stack","",@progbits
	.addrsig
	.addrsig_sym __hip_cuid_5ccbc0ef0a5fea8d
	.amdgpu_metadata
---
amdhsa.kernels:
  - .args:
      - .actual_access:  read_only
        .address_space:  global
        .offset:         0
        .size:           8
        .value_kind:     global_buffer
      - .offset:         8
        .size:           8
        .value_kind:     by_value
      - .actual_access:  read_only
        .address_space:  global
        .offset:         16
        .size:           8
        .value_kind:     global_buffer
      - .actual_access:  read_only
        .address_space:  global
        .offset:         24
        .size:           8
        .value_kind:     global_buffer
      - .offset:         32
        .size:           8
        .value_kind:     by_value
      - .actual_access:  read_only
        .address_space:  global
        .offset:         40
        .size:           8
        .value_kind:     global_buffer
      - .actual_access:  read_only
        .address_space:  global
        .offset:         48
        .size:           8
        .value_kind:     global_buffer
      - .offset:         56
        .size:           4
        .value_kind:     by_value
      - .actual_access:  read_only
        .address_space:  global
        .offset:         64
        .size:           8
        .value_kind:     global_buffer
      - .actual_access:  read_only
        .address_space:  global
        .offset:         72
        .size:           8
        .value_kind:     global_buffer
      - .address_space:  global
        .offset:         80
        .size:           8
        .value_kind:     global_buffer
    .group_segment_fixed_size: 0
    .kernarg_segment_align: 8
    .kernarg_segment_size: 88
    .language:       OpenCL C
    .language_version:
      - 2
      - 0
    .max_flat_workgroup_size: 56
    .name:           fft_rtc_fwd_len840_factors_2_2_2_3_5_7_wgs_56_tpt_56_halfLds_sp_ip_CI_unitstride_sbrr_C2R_dirReg
    .private_segment_fixed_size: 0
    .sgpr_count:     34
    .sgpr_spill_count: 0
    .symbol:         fft_rtc_fwd_len840_factors_2_2_2_3_5_7_wgs_56_tpt_56_halfLds_sp_ip_CI_unitstride_sbrr_C2R_dirReg.kd
    .uniform_work_group_size: 1
    .uses_dynamic_stack: false
    .vgpr_count:     95
    .vgpr_spill_count: 0
    .wavefront_size: 32
    .workgroup_processor_mode: 1
amdhsa.target:   amdgcn-amd-amdhsa--gfx1201
amdhsa.version:
  - 1
  - 2
...

	.end_amdgpu_metadata
